;; amdgpu-corpus repo=ROCm/rocFFT kind=compiled arch=gfx1030 opt=O3
	.text
	.amdgcn_target "amdgcn-amd-amdhsa--gfx1030"
	.amdhsa_code_object_version 6
	.protected	fft_rtc_fwd_len3840_factors_10_6_2_2_2_2_2_2_wgs_128_tpt_128_halfLds_half_op_CI_CI_unitstride_sbrr_dirReg ; -- Begin function fft_rtc_fwd_len3840_factors_10_6_2_2_2_2_2_2_wgs_128_tpt_128_halfLds_half_op_CI_CI_unitstride_sbrr_dirReg
	.globl	fft_rtc_fwd_len3840_factors_10_6_2_2_2_2_2_2_wgs_128_tpt_128_halfLds_half_op_CI_CI_unitstride_sbrr_dirReg
	.p2align	8
	.type	fft_rtc_fwd_len3840_factors_10_6_2_2_2_2_2_2_wgs_128_tpt_128_halfLds_half_op_CI_CI_unitstride_sbrr_dirReg,@function
fft_rtc_fwd_len3840_factors_10_6_2_2_2_2_2_2_wgs_128_tpt_128_halfLds_half_op_CI_CI_unitstride_sbrr_dirReg: ; @fft_rtc_fwd_len3840_factors_10_6_2_2_2_2_2_2_wgs_128_tpt_128_halfLds_half_op_CI_CI_unitstride_sbrr_dirReg
; %bb.0:
	s_clause 0x2
	s_load_dwordx4 s[12:15], s[4:5], 0x0
	s_load_dwordx4 s[8:11], s[4:5], 0x58
	;; [unrolled: 1-line block ×3, first 2 shown]
	v_mov_b32_e32 v4, 0
	v_mov_b32_e32 v2, 0
	v_mov_b32_e32 v6, s6
	v_mov_b32_e32 v3, 0
	v_mov_b32_e32 v7, v4
	s_waitcnt lgkmcnt(0)
	v_cmp_lt_u64_e64 s0, s[14:15], 2
	s_and_b32 vcc_lo, exec_lo, s0
	s_cbranch_vccnz .LBB0_8
; %bb.1:
	s_load_dwordx2 s[0:1], s[4:5], 0x10
	v_mov_b32_e32 v2, 0
	v_mov_b32_e32 v3, 0
	s_add_u32 s2, s18, 8
	s_addc_u32 s3, s19, 0
	s_add_u32 s6, s16, 8
	s_addc_u32 s7, s17, 0
	v_mov_b32_e32 v23, v3
	v_mov_b32_e32 v22, v2
	s_mov_b64 s[22:23], 1
	s_waitcnt lgkmcnt(0)
	s_add_u32 s20, s0, 8
	s_addc_u32 s21, s1, 0
.LBB0_2:                                ; =>This Inner Loop Header: Depth=1
	s_load_dwordx2 s[24:25], s[20:21], 0x0
                                        ; implicit-def: $vgpr24_vgpr25
	s_mov_b32 s0, exec_lo
	s_waitcnt lgkmcnt(0)
	v_or_b32_e32 v5, s25, v7
	v_cmpx_ne_u64_e32 0, v[4:5]
	s_xor_b32 s1, exec_lo, s0
	s_cbranch_execz .LBB0_4
; %bb.3:                                ;   in Loop: Header=BB0_2 Depth=1
	v_cvt_f32_u32_e32 v1, s24
	v_cvt_f32_u32_e32 v5, s25
	s_sub_u32 s0, 0, s24
	s_subb_u32 s26, 0, s25
	v_fmac_f32_e32 v1, 0x4f800000, v5
	v_rcp_f32_e32 v1, v1
	v_mul_f32_e32 v1, 0x5f7ffffc, v1
	v_mul_f32_e32 v5, 0x2f800000, v1
	v_trunc_f32_e32 v5, v5
	v_fmac_f32_e32 v1, 0xcf800000, v5
	v_cvt_u32_f32_e32 v5, v5
	v_cvt_u32_f32_e32 v1, v1
	v_mul_lo_u32 v8, s0, v5
	v_mul_hi_u32 v9, s0, v1
	v_mul_lo_u32 v10, s26, v1
	v_add_nc_u32_e32 v8, v9, v8
	v_mul_lo_u32 v9, s0, v1
	v_add_nc_u32_e32 v8, v8, v10
	v_mul_hi_u32 v10, v1, v9
	v_mul_lo_u32 v11, v1, v8
	v_mul_hi_u32 v12, v1, v8
	v_mul_hi_u32 v13, v5, v9
	v_mul_lo_u32 v9, v5, v9
	v_mul_hi_u32 v14, v5, v8
	v_mul_lo_u32 v8, v5, v8
	v_add_co_u32 v10, vcc_lo, v10, v11
	v_add_co_ci_u32_e32 v11, vcc_lo, 0, v12, vcc_lo
	v_add_co_u32 v9, vcc_lo, v10, v9
	v_add_co_ci_u32_e32 v9, vcc_lo, v11, v13, vcc_lo
	v_add_co_ci_u32_e32 v10, vcc_lo, 0, v14, vcc_lo
	v_add_co_u32 v8, vcc_lo, v9, v8
	v_add_co_ci_u32_e32 v9, vcc_lo, 0, v10, vcc_lo
	v_add_co_u32 v1, vcc_lo, v1, v8
	v_add_co_ci_u32_e32 v5, vcc_lo, v5, v9, vcc_lo
	v_mul_hi_u32 v8, s0, v1
	v_mul_lo_u32 v10, s26, v1
	v_mul_lo_u32 v9, s0, v5
	v_add_nc_u32_e32 v8, v8, v9
	v_mul_lo_u32 v9, s0, v1
	v_add_nc_u32_e32 v8, v8, v10
	v_mul_hi_u32 v10, v1, v9
	v_mul_lo_u32 v11, v1, v8
	v_mul_hi_u32 v12, v1, v8
	v_mul_hi_u32 v13, v5, v9
	v_mul_lo_u32 v9, v5, v9
	v_mul_hi_u32 v14, v5, v8
	v_mul_lo_u32 v8, v5, v8
	v_add_co_u32 v10, vcc_lo, v10, v11
	v_add_co_ci_u32_e32 v11, vcc_lo, 0, v12, vcc_lo
	v_add_co_u32 v9, vcc_lo, v10, v9
	v_add_co_ci_u32_e32 v9, vcc_lo, v11, v13, vcc_lo
	v_add_co_ci_u32_e32 v10, vcc_lo, 0, v14, vcc_lo
	v_add_co_u32 v8, vcc_lo, v9, v8
	v_add_co_ci_u32_e32 v9, vcc_lo, 0, v10, vcc_lo
	v_add_co_u32 v1, vcc_lo, v1, v8
	v_add_co_ci_u32_e32 v5, vcc_lo, v5, v9, vcc_lo
	v_mul_hi_u32 v14, v6, v1
	v_mad_u64_u32 v[10:11], null, v7, v1, 0
	v_mad_u64_u32 v[8:9], null, v6, v5, 0
	;; [unrolled: 1-line block ×3, first 2 shown]
	v_add_co_u32 v1, vcc_lo, v14, v8
	v_add_co_ci_u32_e32 v5, vcc_lo, 0, v9, vcc_lo
	v_add_co_u32 v1, vcc_lo, v1, v10
	v_add_co_ci_u32_e32 v1, vcc_lo, v5, v11, vcc_lo
	v_add_co_ci_u32_e32 v5, vcc_lo, 0, v13, vcc_lo
	v_add_co_u32 v1, vcc_lo, v1, v12
	v_add_co_ci_u32_e32 v5, vcc_lo, 0, v5, vcc_lo
	v_mul_lo_u32 v10, s25, v1
	v_mad_u64_u32 v[8:9], null, s24, v1, 0
	v_mul_lo_u32 v11, s24, v5
	v_sub_co_u32 v8, vcc_lo, v6, v8
	v_add3_u32 v9, v9, v11, v10
	v_sub_nc_u32_e32 v10, v7, v9
	v_subrev_co_ci_u32_e64 v10, s0, s25, v10, vcc_lo
	v_add_co_u32 v11, s0, v1, 2
	v_add_co_ci_u32_e64 v12, s0, 0, v5, s0
	v_sub_co_u32 v13, s0, v8, s24
	v_sub_co_ci_u32_e32 v9, vcc_lo, v7, v9, vcc_lo
	v_subrev_co_ci_u32_e64 v10, s0, 0, v10, s0
	v_cmp_le_u32_e32 vcc_lo, s24, v13
	v_cmp_eq_u32_e64 s0, s25, v9
	v_cndmask_b32_e64 v13, 0, -1, vcc_lo
	v_cmp_le_u32_e32 vcc_lo, s25, v10
	v_cndmask_b32_e64 v14, 0, -1, vcc_lo
	v_cmp_le_u32_e32 vcc_lo, s24, v8
	;; [unrolled: 2-line block ×3, first 2 shown]
	v_cndmask_b32_e64 v15, 0, -1, vcc_lo
	v_cmp_eq_u32_e32 vcc_lo, s25, v10
	v_cndmask_b32_e64 v8, v15, v8, s0
	v_cndmask_b32_e32 v10, v14, v13, vcc_lo
	v_add_co_u32 v13, vcc_lo, v1, 1
	v_add_co_ci_u32_e32 v14, vcc_lo, 0, v5, vcc_lo
	v_cmp_ne_u32_e32 vcc_lo, 0, v10
	v_cndmask_b32_e32 v9, v14, v12, vcc_lo
	v_cndmask_b32_e32 v10, v13, v11, vcc_lo
	v_cmp_ne_u32_e32 vcc_lo, 0, v8
	v_cndmask_b32_e32 v25, v5, v9, vcc_lo
	v_cndmask_b32_e32 v24, v1, v10, vcc_lo
.LBB0_4:                                ;   in Loop: Header=BB0_2 Depth=1
	s_andn2_saveexec_b32 s0, s1
	s_cbranch_execz .LBB0_6
; %bb.5:                                ;   in Loop: Header=BB0_2 Depth=1
	v_cvt_f32_u32_e32 v1, s24
	s_sub_i32 s1, 0, s24
	v_mov_b32_e32 v25, v4
	v_rcp_iflag_f32_e32 v1, v1
	v_mul_f32_e32 v1, 0x4f7ffffe, v1
	v_cvt_u32_f32_e32 v1, v1
	v_mul_lo_u32 v5, s1, v1
	v_mul_hi_u32 v5, v1, v5
	v_add_nc_u32_e32 v1, v1, v5
	v_mul_hi_u32 v1, v6, v1
	v_mul_lo_u32 v5, v1, s24
	v_add_nc_u32_e32 v8, 1, v1
	v_sub_nc_u32_e32 v5, v6, v5
	v_subrev_nc_u32_e32 v9, s24, v5
	v_cmp_le_u32_e32 vcc_lo, s24, v5
	v_cndmask_b32_e32 v5, v5, v9, vcc_lo
	v_cndmask_b32_e32 v1, v1, v8, vcc_lo
	v_cmp_le_u32_e32 vcc_lo, s24, v5
	v_add_nc_u32_e32 v8, 1, v1
	v_cndmask_b32_e32 v24, v1, v8, vcc_lo
.LBB0_6:                                ;   in Loop: Header=BB0_2 Depth=1
	s_or_b32 exec_lo, exec_lo, s0
	v_mul_lo_u32 v1, v25, s24
	v_mul_lo_u32 v5, v24, s25
	s_load_dwordx2 s[0:1], s[6:7], 0x0
	v_mad_u64_u32 v[8:9], null, v24, s24, 0
	s_load_dwordx2 s[24:25], s[2:3], 0x0
	s_add_u32 s22, s22, 1
	s_addc_u32 s23, s23, 0
	s_add_u32 s2, s2, 8
	s_addc_u32 s3, s3, 0
	s_add_u32 s6, s6, 8
	v_add3_u32 v1, v9, v5, v1
	v_sub_co_u32 v5, vcc_lo, v6, v8
	s_addc_u32 s7, s7, 0
	s_add_u32 s20, s20, 8
	v_sub_co_ci_u32_e32 v1, vcc_lo, v7, v1, vcc_lo
	s_addc_u32 s21, s21, 0
	s_waitcnt lgkmcnt(0)
	v_mul_lo_u32 v6, s0, v1
	v_mul_lo_u32 v7, s1, v5
	v_mad_u64_u32 v[2:3], null, s0, v5, v[2:3]
	v_mul_lo_u32 v1, s24, v1
	v_mul_lo_u32 v8, s25, v5
	v_mad_u64_u32 v[22:23], null, s24, v5, v[22:23]
	v_cmp_ge_u64_e64 s0, s[22:23], s[14:15]
	v_add3_u32 v3, v7, v3, v6
	v_add3_u32 v23, v8, v23, v1
	s_and_b32 vcc_lo, exec_lo, s0
	s_cbranch_vccnz .LBB0_9
; %bb.7:                                ;   in Loop: Header=BB0_2 Depth=1
	v_mov_b32_e32 v6, v24
	v_mov_b32_e32 v7, v25
	s_branch .LBB0_2
.LBB0_8:
	v_mov_b32_e32 v23, v3
	v_mov_b32_e32 v25, v7
	;; [unrolled: 1-line block ×4, first 2 shown]
.LBB0_9:
	s_load_dwordx2 s[0:1], s[4:5], 0x28
	s_lshl_b64 s[4:5], s[14:15], 3
	v_or_b32_e32 v26, 0x80, v0
	v_or_b32_e32 v28, 0x100, v0
	;; [unrolled: 1-line block ×14, first 2 shown]
	s_add_u32 s2, s18, s4
	s_addc_u32 s3, s19, s5
	s_waitcnt lgkmcnt(0)
	v_cmp_gt_u64_e32 vcc_lo, s[0:1], v[24:25]
	v_cmp_le_u64_e64 s0, s[0:1], v[24:25]
	s_and_saveexec_b32 s1, s0
	s_xor_b32 s0, exec_lo, s1
	s_cbranch_execz .LBB0_11
; %bb.10:
	v_mov_b32_e32 v1, 0
	v_or_b32_e32 v26, 0x80, v0
	v_or_b32_e32 v28, 0x100, v0
	;; [unrolled: 1-line block ×14, first 2 shown]
	v_mov_b32_e32 v27, v1
	v_mov_b32_e32 v29, v1
	;; [unrolled: 1-line block ×6, first 2 shown]
                                        ; implicit-def: $vgpr2_vgpr3
.LBB0_11:
	s_or_saveexec_b32 s1, s0
                                        ; implicit-def: $vgpr61
                                        ; implicit-def: $vgpr33
                                        ; implicit-def: $vgpr66
                                        ; implicit-def: $vgpr59
                                        ; implicit-def: $vgpr67
                                        ; implicit-def: $vgpr55
                                        ; implicit-def: $vgpr68
                                        ; implicit-def: $vgpr37
                                        ; implicit-def: $vgpr69
                                        ; implicit-def: $vgpr53
                                        ; implicit-def: $vgpr21
                                        ; implicit-def: $vgpr50
                                        ; implicit-def: $vgpr62
                                        ; implicit-def: $vgpr6
                                        ; implicit-def: $vgpr64
                                        ; implicit-def: $vgpr4
                                        ; implicit-def: $vgpr56
                                        ; implicit-def: $vgpr8
                                        ; implicit-def: $vgpr63
                                        ; implicit-def: $vgpr12
                                        ; implicit-def: $vgpr15
                                        ; implicit-def: $vgpr54
                                        ; implicit-def: $vgpr17
                                        ; implicit-def: $vgpr5
                                        ; implicit-def: $vgpr18
                                        ; implicit-def: $vgpr7
                                        ; implicit-def: $vgpr19
                                        ; implicit-def: $vgpr11
                                        ; implicit-def: $vgpr20
                                        ; implicit-def: $vgpr13
                                        ; implicit-def: $vgpr16
                                        ; implicit-def: $vgpr70
                                        ; implicit-def: $vgpr14
                                        ; implicit-def: $vgpr10
                                        ; implicit-def: $vgpr71
                                        ; implicit-def: $vgpr65
                                        ; implicit-def: $vgpr49
                                        ; implicit-def: $vgpr39
                                        ; implicit-def: $vgpr9
                                        ; implicit-def: $vgpr72
                                        ; implicit-def: $vgpr57
                                        ; implicit-def: $vgpr58
                                        ; implicit-def: $vgpr52
                                        ; implicit-def: $vgpr51
                                        ; implicit-def: $vgpr60
	s_xor_b32 exec_lo, exec_lo, s1
	s_cbranch_execz .LBB0_13
; %bb.12:
	s_add_u32 s4, s16, s4
	s_addc_u32 s5, s17, s5
	v_lshlrev_b64 v[1:2], 2, v[2:3]
	s_load_dwordx2 s[4:5], s[4:5], 0x0
	v_lshlrev_b32_e32 v21, 2, v0
	v_lshlrev_b32_e32 v8, 2, v36
	v_or_b32_e32 v9, 0x1e00, v21
	v_or_b32_e32 v12, 0x2400, v21
	;; [unrolled: 1-line block ×5, first 2 shown]
	s_waitcnt lgkmcnt(0)
	v_mul_lo_u32 v6, s5, v24
	v_mul_lo_u32 v7, s4, v25
	v_mad_u64_u32 v[4:5], null, s4, v24, 0
	v_add3_u32 v5, v5, v7, v6
	v_lshlrev_b32_e32 v6, 2, v41
	v_lshlrev_b32_e32 v7, 2, v34
	v_lshlrev_b64 v[3:4], 2, v[4:5]
	v_lshlrev_b32_e32 v5, 2, v30
	v_add_co_u32 v3, s0, s8, v3
	v_add_co_ci_u32_e64 v4, s0, s9, v4, s0
	v_add_co_u32 v27, s0, v3, v1
	v_add_co_ci_u32_e64 v29, s0, v4, v2, s0
	;; [unrolled: 2-line block ×9, first 2 shown]
	v_add_co_u32 v19, s0, v27, v20
	global_load_dword v37, v[3:4], off
	v_lshlrev_b32_e32 v3, 2, v32
	v_add_co_ci_u32_e64 v20, s0, 0, v29, s0
	v_add_co_u32 v5, s0, v27, v5
	v_lshlrev_b32_e32 v4, 2, v38
	v_add_co_ci_u32_e64 v6, s0, 0, v29, s0
	v_add_co_u32 v48, s0, v27, v3
	;; [unrolled: 3-line block ×3, first 2 shown]
	v_add_co_ci_u32_e64 v4, s0, 0, v29, s0
	v_add_co_u32 v50, s0, v27, v9
	v_add_co_ci_u32_e64 v51, s0, 0, v29, s0
	v_add_co_u32 v52, s0, v27, v33
	v_add_co_ci_u32_e64 v53, s0, 0, v29, s0
	s_clause 0x6
	global_load_dword v4, v[3:4], off
	global_load_dword v49, v[48:49], off
	global_load_dword v6, v[5:6], off
	global_load_dword v72, v[50:51], off
	global_load_dword v51, v[52:53], off
	global_load_dword v53, v[19:20], off
	global_load_dword v52, v[7:8], off
	v_or_b32_e32 v3, 0x2600, v21
	v_or_b32_e32 v5, 0x2000, v21
	s_clause 0x1
	global_load_dword v33, v[1:2], off
	global_load_dword v50, v[1:2], off offset:512
	v_add_co_u32 v7, s0, v27, v3
	v_add_co_ci_u32_e64 v8, s0, 0, v29, s0
	v_or_b32_e32 v3, 0x3200, v21
	v_add_co_u32 v19, s0, v27, v5
	global_load_dword v8, v[7:8], off
	v_or_b32_e32 v7, 0x3800, v21
	v_add_co_ci_u32_e64 v20, s0, 0, v29, s0
	v_add_co_u32 v54, s0, v27, v3
	v_or_b32_e32 v5, 0x2c00, v21
	v_add_co_ci_u32_e64 v55, s0, 0, v29, s0
	v_add_co_u32 v56, s0, v27, v7
	v_lshlrev_b32_e32 v3, 2, v31
	v_add_co_ci_u32_e64 v57, s0, 0, v29, s0
	v_add_co_u32 v61, s0, v27, v5
	v_add_co_ci_u32_e64 v62, s0, 0, v29, s0
	v_lshlrev_b32_e32 v5, 2, v43
	s_clause 0x7
	global_load_dword v12, v[54:55], off
	global_load_dword v9, v[56:57], off
	;; [unrolled: 1-line block ×6, first 2 shown]
	global_load_dword v60, v[1:2], off offset:1536
	global_load_dword v54, v[1:2], off offset:1024
	v_add_co_u32 v1, s0, v27, v3
	v_add_co_ci_u32_e64 v2, s0, 0, v29, s0
	v_lshlrev_b32_e32 v3, 2, v40
	v_add_co_u32 v14, s0, v27, v5
	v_add_co_ci_u32_e64 v15, s0, 0, v29, s0
	v_lshlrev_b32_e32 v7, 2, v35
	global_load_dword v5, v[1:2], off
	v_add_co_u32 v1, s0, v27, v3
	v_add_co_ci_u32_e64 v2, s0, 0, v29, s0
	v_or_b32_e32 v3, 0x2800, v21
	v_add_co_u32 v16, s0, v27, v7
	v_add_co_ci_u32_e64 v17, s0, 0, v29, s0
	v_or_b32_e32 v10, 0x2200, v21
	global_load_dword v7, v[1:2], off
	v_add_co_u32 v1, s0, v27, v3
	v_add_co_ci_u32_e64 v2, s0, 0, v29, s0
	v_or_b32_e32 v3, 0x3400, v21
	v_add_co_u32 v63, s0, v27, v10
	v_add_co_ci_u32_e64 v64, s0, 0, v29, s0
	v_or_b32_e32 v10, 0x2e00, v21
	global_load_dword v11, v[1:2], off
	v_add_co_u32 v1, s0, v27, v3
	v_add_co_ci_u32_e64 v2, s0, 0, v29, s0
	v_or_b32_e32 v3, 0x3a00, v21
	v_add_co_u32 v66, s0, v27, v10
	v_add_co_ci_u32_e64 v67, s0, 0, v29, s0
	global_load_dword v13, v[1:2], off
	v_add_co_u32 v1, s0, v27, v3
	v_add_co_ci_u32_e64 v2, s0, 0, v29, s0
	s_clause 0x6
	global_load_dword v70, v[16:17], off
	global_load_dword v71, v[14:15], off
	;; [unrolled: 1-line block ×7, first 2 shown]
	v_mov_b32_e32 v1, 0
	v_mov_b32_e32 v48, v1
	;; [unrolled: 1-line block ×7, first 2 shown]
	s_waitcnt vmcnt(29)
	v_lshrrev_b32_e32 v68, 16, v37
	s_waitcnt vmcnt(28)
	v_lshrrev_b32_e32 v64, 16, v4
	;; [unrolled: 2-line block ×9, first 2 shown]
	v_lshrrev_b32_e32 v63, 16, v12
	s_waitcnt vmcnt(11)
	v_lshrrev_b32_e32 v15, 16, v54
	s_waitcnt vmcnt(10)
	;; [unrolled: 2-line block ×5, first 2 shown]
	v_lshrrev_b32_e32 v20, 16, v13
.LBB0_13:
	s_or_b32 exec_lo, exec_lo, s1
	v_add_f16_e32 v2, v55, v37
	v_sub_f16_e32 v3, v59, v55
	v_sub_f16_e32 v75, v53, v37
	v_pk_add_f16 v78, v58, v57 neg_lo:[0,1] neg_hi:[0,1]
	v_pk_add_f16 v79, v51, v52 neg_lo:[0,1] neg_hi:[0,1]
	v_add_f16_e32 v81, v57, v52
	v_pk_add_f16 v73, v58, v51 neg_lo:[0,1] neg_hi:[0,1]
	v_fma_f16 v80, -0.5, v2, v33
	v_pk_add_f16 v74, v57, v52 neg_lo:[0,1] neg_hi:[0,1]
	v_lshrrev_b32_e32 v2, 16, v60
	v_add_f16_e32 v3, v3, v75
	v_pk_add_f16 v75, v78, v79
	v_fma_f16 v78, -0.5, v81, v60
	v_lshrrev_b32_e32 v79, 16, v73
	v_add_f16_sdwa v81, v57, v52 dst_sel:DWORD dst_unused:UNUSED_PAD src0_sel:WORD_1 src1_sel:WORD_1
	v_sub_f16_sdwa v84, v58, v57 dst_sel:DWORD dst_unused:UNUSED_PAD src0_sel:WORD_1 src1_sel:WORD_1
	v_bfi_b32 v75, 0xffff, v75, v74
	v_sub_f16_sdwa v85, v51, v52 dst_sel:DWORD dst_unused:UNUSED_PAD src0_sel:WORD_1 src1_sel:WORD_1
	v_fmamk_f16 v83, v79, 0x3b9c, v78
	v_fmac_f16_e32 v78, 0xbb9c, v79
	v_add_f16_sdwa v79, v2, v58 dst_sel:DWORD dst_unused:UNUSED_PAD src0_sel:DWORD src1_sel:WORD_1
	v_fmac_f16_e32 v2, -0.5, v81
	v_pk_mul_f16 v81, 0x38b434f2, v75
	v_add_f16_e32 v86, v33, v59
	v_add_f16_e32 v87, v60, v58
	v_sub_f16_e32 v76, v66, v69
	v_fmamk_f16 v75, v73, 0xbb9c, v2
	v_add_f16_e32 v84, v84, v85
	v_add_f16_e32 v85, v86, v55
	;; [unrolled: 1-line block ×3, first 2 shown]
	v_sub_f16_e32 v77, v67, v68
	v_fmac_f16_e32 v75, 0xb8b4, v74
	v_fmamk_f16 v82, v76, 0x3b9c, v80
	v_fmac_f16_e32 v80, 0xbb9c, v76
	v_add_f16_sdwa v83, v81, v83 dst_sel:DWORD dst_unused:UNUSED_PAD src0_sel:WORD_1 src1_sel:DWORD
	v_add_f16_e32 v85, v85, v37
	v_fmac_f16_e32 v75, 0x34f2, v84
	v_add_f16_e32 v86, v86, v52
	v_fmac_f16_e32 v82, 0x38b4, v77
	v_fmac_f16_e32 v80, 0xb8b4, v77
	v_sub_f16_sdwa v87, v78, v81 dst_sel:DWORD dst_unused:UNUSED_PAD src0_sel:DWORD src1_sel:WORD_1
	v_fmac_f16_e32 v2, 0x3b9c, v73
	v_add_f16_e32 v78, v81, v83
	v_add_f16_e32 v83, v85, v53
	v_mul_f16_e32 v85, 0x38b4, v75
	v_add_f16_e32 v86, v86, v51
	v_fmac_f16_e32 v82, 0x34f2, v3
	v_fmac_f16_e32 v2, 0x38b4, v74
	;; [unrolled: 1-line block ×3, first 2 shown]
	v_add_f16_e32 v3, v81, v87
	v_fmac_f16_e32 v85, 0x3a79, v78
	v_add_f16_e32 v81, v83, v86
	v_sub_f16_e32 v83, v83, v86
	v_add_f16_e32 v86, v4, v8
	v_add_f16_e32 v88, v6, v12
	v_fmac_f16_e32 v2, 0x34f2, v84
	v_mul_f16_e32 v84, 0x3a79, v3
	v_add_f16_e32 v87, v82, v85
	v_sub_f16_e32 v82, v82, v85
	v_fma_f16 v85, -0.5, v86, v50
	v_add_f16_e32 v86, v50, v6
	v_fmac_f16_e32 v50, -0.5, v88
	v_sub_f16_e32 v88, v64, v56
	v_fma_f16 v84, v2, 0x38b4, -v84
	v_sub_f16_e32 v90, v6, v4
	v_sub_f16_e32 v91, v4, v6
	;; [unrolled: 1-line block ×3, first 2 shown]
	v_fmamk_f16 v95, v88, 0xbb9c, v50
	v_sub_f16_e32 v96, v62, v63
	v_sub_f16_e32 v93, v12, v8
	v_fmac_f16_e32 v50, 0x3b9c, v88
	v_add_f16_e32 v89, v80, v84
	v_sub_f16_e32 v80, v80, v84
	v_add_f16_e32 v84, v91, v92
	v_fmac_f16_e32 v95, 0x38b4, v96
	v_add_f16_e32 v90, v90, v93
	v_fmac_f16_e32 v50, 0xb8b4, v96
	s_waitcnt vmcnt(3)
	v_pk_add_f16 v91, v49, v65 neg_lo:[0,1] neg_hi:[0,1]
	v_pk_add_f16 v92, v9, v39 neg_lo:[0,1] neg_hi:[0,1]
	v_pk_add_f16 v93, v49, v9
	v_pk_add_f16 v99, v65, v39 neg_lo:[0,1] neg_hi:[0,1]
	v_fmac_f16_e32 v95, 0x34f2, v84
	v_fmac_f16_e32 v50, 0x34f2, v84
	v_pk_add_f16 v84, v91, v92
	v_pk_fma_f16 v92, v93, 0.5, v72 op_sel_hi:[1,0,1] neg_lo:[1,0,0] neg_hi:[1,0,0]
	v_pk_mul_f16 v93, 0x3b9c, v99 op_sel_hi:[0,1]
	v_pk_add_f16 v100, v49, v9 neg_lo:[0,1] neg_hi:[0,1]
	v_pk_add_f16 v98, v65, v49 neg_lo:[0,1] neg_hi:[0,1]
	;; [unrolled: 1-line block ×3, first 2 shown]
	v_lshrrev_b32_e32 v91, 16, v72
	v_pk_add_f16 v102, v92, v93 op_sel:[0,1] op_sel_hi:[1,0] neg_lo:[0,1] neg_hi:[0,1]
	v_pk_mul_f16 v103, 0x38b4, v100 op_sel_hi:[0,1]
	v_pk_add_f16 v92, v93, v92 op_sel:[1,0] op_sel_hi:[0,1]
	v_add_f16_e32 v93, v65, v39
	v_pk_add_f16 v98, v98, v101
	v_add_f16_sdwa v94, v65, v39 dst_sel:DWORD dst_unused:UNUSED_PAD src0_sel:WORD_1 src1_sel:WORD_1
	v_pk_add_f16 v101, v103, v102 op_sel:[1,0] op_sel_hi:[0,1]
	v_pk_add_f16 v92, v92, v103 op_sel:[0,1] op_sel_hi:[1,0] neg_lo:[0,1] neg_hi:[0,1]
	v_fma_f16 v102, -0.5, v93, v72
	v_add_f16_sdwa v97, v91, v49 dst_sel:DWORD dst_unused:UNUSED_PAD src0_sel:DWORD src1_sel:WORD_1
	v_fmac_f16_e32 v91, -0.5, v94
	v_pk_fma_f16 v94, 0x34f2, v98, v101 op_sel_hi:[0,1,1]
	v_pk_fma_f16 v93, 0x34f2, v98, v92 op_sel_hi:[0,1,1]
	v_mul_u32_u24_e32 v92, 10, v0
	v_pack_b32_f16 v81, v81, v87
	v_add_f16_e32 v72, v72, v49
	v_sub_f16_sdwa v49, v49, v65 dst_sel:DWORD dst_unused:UNUSED_PAD src0_sel:WORD_1 src1_sel:WORD_1
	v_sub_f16_sdwa v98, v9, v39 dst_sel:DWORD dst_unused:UNUSED_PAD src0_sel:WORD_1 src1_sel:WORD_1
	v_lshl_add_u32 v92, v92, 1, 0
	v_mul_f16_e32 v87, 0x34f2, v93
	v_lshrrev_b32_e32 v104, 16, v94
	v_bfi_b32 v84, 0xffff, v84, v99
	v_add_f16_e32 v49, v49, v98
	ds_write_b32 v92, v81
	v_pack_b32_f16 v81, v89, v83
	v_lshrrev_b32_e32 v89, 16, v100
	v_fmamk_f16 v98, v100, 0xbb9c, v91
	v_fma_f16 v83, v104, 0x3b9c, -v87
	v_pk_mul_f16 v84, 0x38b434f2, v84
	v_mul_f16_e32 v101, 0x34f2, v94
	v_fmamk_f16 v104, v89, 0x3b9c, v102
	v_fmac_f16_e32 v102, 0xbb9c, v89
	v_lshrrev_b32_e32 v103, 16, v93
	v_fmac_f16_e32 v98, 0xb8b4, v99
	v_fmac_f16_e32 v91, 0x3b9c, v100
	v_add_f16_e32 v86, v86, v4
	v_sub_f16_sdwa v89, v102, v84 dst_sel:DWORD dst_unused:UNUSED_PAD src0_sel:DWORD src1_sel:WORD_1
	v_fmac_f16_e32 v101, 0x3b9c, v103
	v_add_f16_e32 v72, v72, v65
	v_fmamk_f16 v103, v96, 0x3b9c, v85
	v_add_f16_sdwa v104, v84, v104 dst_sel:DWORD dst_unused:UNUSED_PAD src0_sel:WORD_1 src1_sel:DWORD
	v_fmac_f16_e32 v98, 0x34f2, v49
	v_fmac_f16_e32 v85, 0xbb9c, v96
	;; [unrolled: 1-line block ×3, first 2 shown]
	v_add_f16_e32 v99, v84, v89
	v_add_f16_e32 v86, v86, v8
	v_fmac_f16_e32 v103, 0x38b4, v88
	v_add_f16_e32 v72, v72, v39
	v_add_f16_e32 v102, v84, v104
	v_mul_f16_e32 v100, 0x38b4, v98
	v_fmac_f16_e32 v85, 0xb8b4, v88
	v_fmac_f16_e32 v91, 0x34f2, v49
	v_mul_f16_e32 v49, 0x3a79, v99
	v_add_f16_e32 v86, v86, v12
	v_fmac_f16_e32 v103, 0x34f2, v90
	v_add_f16_e32 v72, v72, v9
	v_fmac_f16_e32 v100, 0x3a79, v102
	v_fmac_f16_e32 v85, 0x34f2, v90
	v_fma_f16 v90, v91, 0x38b4, -v49
	v_add_f16_e32 v87, v95, v101
	v_add_f16_e32 v84, v50, v83
	;; [unrolled: 1-line block ×4, first 2 shown]
	v_mul_i32_i24_e32 v49, 10, v26
	v_sub_f16_e32 v96, v103, v100
	v_sub_f16_e32 v95, v95, v101
	;; [unrolled: 1-line block ×3, first 2 shown]
	v_add_f16_e32 v86, v85, v90
	v_pack_b32_f16 v84, v87, v84
	v_pack_b32_f16 v87, v88, v89
	v_lshl_add_u32 v49, v49, 1, 0
	v_pack_b32_f16 v88, v96, v95
	v_pack_b32_f16 v72, v86, v72
	ds_write_b32 v92, v81 offset:8
	ds_write_b16 v92, v82 offset:12
	ds_write_b16 v92, v80 offset:18
	ds_write2_b32 v49, v87, v84 offset1:1
	ds_write2_b32 v49, v72, v88 offset0:2 offset1:3
	v_add_f16_e32 v72, v7, v11
	v_add_f16_e32 v81, v5, v13
	v_sub_f16_e32 v80, v85, v90
	v_add_f16_e32 v85, v54, v5
	v_sub_f16_e32 v86, v11, v13
	v_fma_f16 v72, -0.5, v72, v54
	v_fmac_f16_e32 v54, -0.5, v81
	v_sub_f16_e32 v81, v7, v5
	s_waitcnt vmcnt(2)
	v_pk_add_f16 v88, v70, v10
	s_waitcnt vmcnt(0)
	v_pk_add_f16 v89, v16, v14 neg_lo:[0,1] neg_hi:[0,1]
	v_pk_add_f16 v90, v70, v10 neg_lo:[0,1] neg_hi:[0,1]
	v_sub_f16_e32 v82, v5, v7
	v_add_f16_e32 v81, v81, v86
	v_pk_fma_f16 v86, v88, 0.5, v71 op_sel_hi:[1,0,1] neg_lo:[1,0,0] neg_hi:[1,0,0]
	v_pk_mul_f16 v88, 0x3b9c, v89 op_sel_hi:[0,1]
	v_sub_f16_e32 v84, v13, v11
	v_sub_f16_e32 v87, v18, v19
	v_pk_add_f16 v95, v16, v70 neg_lo:[0,1] neg_hi:[0,1]
	v_pk_add_f16 v96, v14, v10 neg_lo:[0,1] neg_hi:[0,1]
	v_pk_add_f16 v100, v86, v88 op_sel:[0,1] op_sel_hi:[1,0] neg_lo:[0,1] neg_hi:[0,1]
	v_pk_mul_f16 v103, 0x38b4, v90 op_sel_hi:[0,1]
	v_pk_add_f16 v86, v88, v86 op_sel:[1,0] op_sel_hi:[0,1]
	v_add_f16_e32 v82, v82, v84
	v_fmamk_f16 v84, v87, 0xbb9c, v54
	v_sub_f16_e32 v101, v17, v20
	v_fmac_f16_e32 v54, 0x3b9c, v87
	v_pk_add_f16 v88, v95, v96
	v_pk_add_f16 v95, v103, v100 op_sel:[1,0] op_sel_hi:[0,1]
	v_pk_add_f16 v86, v86, v103 op_sel:[0,1] op_sel_hi:[1,0] neg_lo:[0,1] neg_hi:[0,1]
	v_fmac_f16_e32 v84, 0x38b4, v101
	v_fmac_f16_e32 v54, 0xb8b4, v101
	v_pk_add_f16 v103, v70, v16 neg_lo:[0,1] neg_hi:[0,1]
	v_pk_fma_f16 v100, 0x34f2, v88, v95 op_sel_hi:[0,1,1]
	v_pk_fma_f16 v95, 0x34f2, v88, v86 op_sel_hi:[0,1,1]
	v_pk_add_f16 v86, v10, v14 neg_lo:[0,1] neg_hi:[0,1]
	v_fmac_f16_e32 v84, 0x34f2, v81
	v_lshrrev_b32_e32 v96, 16, v71
	v_add_f16_sdwa v88, v16, v14 dst_sel:DWORD dst_unused:UNUSED_PAD src0_sel:WORD_1 src1_sel:WORD_1
	v_mul_f16_e32 v104, 0x34f2, v100
	v_lshrrev_b32_e32 v105, 16, v95
	v_fmac_f16_e32 v54, 0x34f2, v81
	v_pk_add_f16 v81, v103, v86
	v_sub_f16_e32 v50, v50, v83
	v_add_f16_e32 v83, v16, v14
	v_add_f16_sdwa v103, v96, v70 dst_sel:DWORD dst_unused:UNUSED_PAD src0_sel:DWORD src1_sel:WORD_1
	v_fmac_f16_e32 v96, -0.5, v88
	v_fmac_f16_e32 v104, 0x3b9c, v105
	v_mul_f16_e32 v86, 0x34f2, v95
	v_lshrrev_b32_e32 v88, 16, v100
	v_sub_f16_sdwa v105, v70, v16 dst_sel:DWORD dst_unused:UNUSED_PAD src0_sel:WORD_1 src1_sel:WORD_1
	v_sub_f16_sdwa v106, v10, v14 dst_sel:DWORD dst_unused:UNUSED_PAD src0_sel:WORD_1 src1_sel:WORD_1
	v_pack_b32_f16 v50, v50, v80
	v_fma_f16 v80, -0.5, v83, v71
	v_bfi_b32 v81, 0xffff, v81, v89
	v_lshrrev_b32_e32 v83, 16, v90
	v_fma_f16 v86, v88, 0x3b9c, -v86
	v_add_f16_e32 v70, v71, v70
	v_add_f16_e32 v71, v105, v106
	v_fmamk_f16 v105, v90, 0xbb9c, v96
	v_pk_mul_f16 v81, 0x38b434f2, v81
	v_fmamk_f16 v88, v83, 0x3b9c, v80
	v_fmac_f16_e32 v80, 0xbb9c, v83
	v_add_f16_e32 v85, v85, v7
	v_fmac_f16_e32 v105, 0xb8b4, v89
	v_add_f16_e32 v70, v70, v16
	v_fmamk_f16 v106, v101, 0x3b9c, v72
	v_fmac_f16_e32 v96, 0x3b9c, v90
	v_sub_f16_sdwa v80, v80, v81 dst_sel:DWORD dst_unused:UNUSED_PAD src0_sel:DWORD src1_sel:WORD_1
	v_fmac_f16_e32 v72, 0xbb9c, v101
	v_add_f16_sdwa v88, v81, v88 dst_sel:DWORD dst_unused:UNUSED_PAD src0_sel:WORD_1 src1_sel:DWORD
	v_fmac_f16_e32 v105, 0x34f2, v71
	v_add_f16_e32 v85, v85, v11
	v_add_f16_e32 v70, v70, v14
	v_fmac_f16_e32 v106, 0x38b4, v87
	v_fmac_f16_e32 v96, 0x38b4, v89
	v_add_f16_e32 v101, v81, v80
	v_fmac_f16_e32 v72, 0xb8b4, v87
	v_add_f16_e32 v107, v81, v88
	v_mul_f16_e32 v88, 0x38b4, v105
	v_add_f16_e32 v85, v85, v13
	v_add_f16_e32 v70, v70, v10
	v_fmac_f16_e32 v106, 0x34f2, v82
	v_fmac_f16_e32 v96, 0x34f2, v71
	v_mul_f16_e32 v71, 0x3a79, v101
	v_fmac_f16_e32 v72, 0x34f2, v82
	v_add_f16_e32 v82, v59, v53
	ds_write_b32 v49, v50 offset:16
	v_add_f16_e32 v50, v84, v104
	v_fmac_f16_e32 v88, 0x3a79, v107
	v_add_f16_e32 v83, v54, v86
	v_add_f16_e32 v108, v85, v70
	v_fma_f16 v71, v96, 0x38b4, -v71
	v_sub_f16_e32 v70, v85, v70
	v_fmac_f16_e32 v33, -0.5, v82
	v_add_f16_e32 v85, v61, v66
	v_add_f16_e32 v90, v106, v88
	v_pack_b32_f16 v83, v50, v83
	v_mul_i32_i24_e32 v50, 10, v28
	v_sub_f16_e32 v81, v106, v88
	v_sub_f16_e32 v84, v84, v104
	v_add_f16_e32 v82, v72, v71
	v_fmamk_f16 v88, v77, 0xbb9c, v33
	v_fmac_f16_e32 v33, 0x3b9c, v77
	v_add_f16_e32 v77, v85, v67
	v_lshl_add_u32 v50, v50, 1, 0
	v_pack_b32_f16 v81, v81, v84
	v_pack_b32_f16 v70, v82, v70
	v_fmac_f16_e32 v88, 0x38b4, v76
	v_fmac_f16_e32 v33, 0xb8b4, v76
	v_add_f16_e32 v76, v77, v68
	v_pack_b32_f16 v80, v108, v90
	v_sub_f16_e32 v84, v55, v59
	v_sub_f16_e32 v87, v37, v53
	ds_write2_b32 v50, v70, v81 offset0:2 offset1:3
	v_sub_f16_e32 v90, v59, v53
	v_add_f16_e32 v104, v76, v69
	v_add_f16_e32 v53, v67, v68
	v_sub_f16_e32 v59, v66, v67
	v_sub_f16_e32 v70, v69, v68
	;; [unrolled: 1-line block ×3, first 2 shown]
	v_pk_add_f16 v37, v58, v51
	v_sub_f16_e32 v67, v67, v66
	v_add_f16_e32 v66, v66, v69
	v_add_f16_e32 v106, v59, v70
	v_fma_f16 v108, -0.5, v53, v61
	v_add_f16_sdwa v53, v79, v57 dst_sel:DWORD dst_unused:UNUSED_PAD src0_sel:DWORD src1_sel:WORD_1
	v_pk_fma_f16 v37, v37, 0.5, v60 op_sel_hi:[1,0,1] neg_lo:[1,0,0] neg_hi:[1,0,0]
	v_pk_mul_f16 v59, 0x3b9c, v74 op_sel_hi:[0,1]
	v_fmac_f16_e32 v61, -0.5, v66
	v_sub_f16_e32 v60, v72, v71
	v_add_f16_sdwa v53, v53, v52 dst_sel:DWORD dst_unused:UNUSED_PAD src0_sel:DWORD src1_sel:WORD_1
	v_pk_add_f16 v57, v57, v58 neg_lo:[0,1] neg_hi:[0,1]
	v_pk_add_f16 v52, v52, v51 neg_lo:[0,1] neg_hi:[0,1]
	v_pk_add_f16 v58, v37, v59 op_sel:[0,1] op_sel_hi:[1,0] neg_lo:[0,1] neg_hi:[0,1]
	v_pk_mul_f16 v66, 0x38b4, v73 op_sel_hi:[0,1]
	v_sub_f16_e32 v54, v54, v86
	v_sub_f16_e32 v68, v68, v69
	v_pk_add_f16 v37, v59, v37 op_sel:[1,0] op_sel_hi:[0,1]
	v_add_f16_sdwa v109, v53, v51 dst_sel:DWORD dst_unused:UNUSED_PAD src0_sel:DWORD src1_sel:WORD_1
	v_pk_add_f16 v51, v57, v52
	v_pk_add_f16 v52, v66, v58 op_sel:[1,0] op_sel_hi:[0,1]
	v_pack_b32_f16 v53, v54, v60
	v_fmamk_f16 v54, v76, 0x3b9c, v61
	v_fmac_f16_e32 v61, 0xbb9c, v76
	v_add_f16_e32 v55, v67, v68
	v_pk_add_f16 v37, v37, v66 op_sel:[0,1] op_sel_hi:[1,0] neg_lo:[0,1] neg_hi:[0,1]
	v_pk_fma_f16 v52, 0x34f2, v51, v52 op_sel_hi:[0,1,1]
	v_fmac_f16_e32 v54, 0xb8b4, v90
	v_fmac_f16_e32 v61, 0x38b4, v90
	v_fmamk_f16 v111, v90, 0xbb9c, v108
	v_fmac_f16_e32 v108, 0x3b9c, v90
	v_pk_fma_f16 v37, 0x34f2, v51, v37 op_sel_hi:[0,1,1]
	v_mul_f16_e32 v110, 0xb8b4, v78
	v_mul_f16_e32 v51, 0x34f2, v52
	v_lshrrev_b32_e32 v59, 16, v52
	v_pack_b32_f16 v54, v61, v54
	v_mul_f16_e32 v55, 0x34f2, v55
	v_fmac_f16_e32 v111, 0xb8b4, v76
	v_pk_mul_f16 v52, 0x34f23b9c, v52
	v_fmac_f16_e32 v108, 0x38b4, v76
	v_mul_f16_e32 v2, 0x3a79, v2
	v_fmac_f16_e32 v110, 0x3a79, v75
	v_pk_add_f16 v112, v55, v54 op_sel_hi:[0,1]
	v_fmac_f16_e32 v111, 0x34f2, v106
	v_pk_fma_f16 v113, 0x34f2bb9c, v37, v52 op_sel:[0,0,1] op_sel_hi:[1,1,0] neg_lo:[0,0,1] neg_hi:[0,0,1]
	v_fmac_f16_e32 v108, 0x34f2, v106
	v_fma_f16 v2, v3, 0xb8b4, -v2
	v_add_f16_e32 v54, v104, v109
	v_add_f16_e32 v55, v111, v110
	v_sub_f16_e32 v3, v104, v109
	v_bfi_b32 v104, 0xffff, v111, v112
	v_bfi_b32 v106, 0xffff, v110, v113
	v_add_f16_e32 v109, v108, v2
	v_add_f16_e32 v110, v21, v62
	v_sub_f16_e32 v6, v6, v12
	v_add_f16_e32 v12, v64, v56
	v_pk_add_f16 v104, v104, v106 neg_lo:[0,1] neg_hi:[0,1]
	v_pack_b32_f16 v3, v109, v3
	v_add_f16_e32 v106, v110, v64
	v_add_f16_e32 v109, v62, v63
	v_sub_f16_e32 v4, v4, v8
	v_fma_f16 v12, -0.5, v12, v21
	v_add_f16_e32 v82, v84, v87
	v_add_f16_e32 v106, v106, v56
	v_fmac_f16_e32 v21, -0.5, v109
	v_lshrrev_b32_e32 v57, 16, v37
	v_mul_f16_e32 v58, 0x34f2, v37
	v_add_f16_sdwa v8, v97, v65 dst_sel:DWORD dst_unused:UNUSED_PAD src0_sel:DWORD src1_sel:WORD_1
	v_add_f16_e32 v65, v106, v63
	v_sub_f16_e32 v97, v62, v64
	v_sub_f16_e32 v62, v64, v62
	;; [unrolled: 1-line block ×3, first 2 shown]
	v_fmamk_f16 v106, v4, 0x3b9c, v21
	v_fmac_f16_e32 v21, 0xbb9c, v4
	v_sub_f16_e32 v56, v56, v63
	v_fmac_f16_e32 v88, 0x34f2, v82
	v_fmac_f16_e32 v33, 0x34f2, v82
	;; [unrolled: 1-line block ×3, first 2 shown]
	v_fma_f16 v57, v59, 0x3b9c, -v58
	v_add_f16_sdwa v8, v8, v39 dst_sel:DWORD dst_unused:UNUSED_PAD src0_sel:DWORD src1_sel:WORD_1
	v_fmac_f16_e32 v106, 0xb8b4, v6
	v_fmac_f16_e32 v21, 0x38b4, v6
	v_add_f16_e32 v56, v62, v56
	v_fmamk_f16 v62, v6, 0xbb9c, v12
	v_fmac_f16_e32 v12, 0x3b9c, v6
	ds_write_b32 v50, v53 offset:16
	v_add_f16_e32 v53, v88, v51
	v_add_f16_e32 v58, v33, v57
	;; [unrolled: 1-line block ×3, first 2 shown]
	v_add_f16_sdwa v8, v8, v9 dst_sel:DWORD dst_unused:UNUSED_PAD src0_sel:DWORD src1_sel:WORD_1
	v_mul_f16_e32 v9, 0xb8b4, v102
	v_pack_b32_f16 v21, v21, v106
	v_mul_f16_e32 v56, 0x34f2, v56
	v_fmac_f16_e32 v62, 0xb8b4, v4
	v_pk_mul_f16 v6, 0x34f23b9c, v94
	v_fmac_f16_e32 v12, 0x38b4, v4
	v_mul_f16_e32 v4, 0x3a79, v91
	v_pack_b32_f16 v53, v53, v58
	v_sub_f16_e32 v51, v88, v51
	v_sub_f16_e32 v33, v33, v57
	v_fmac_f16_e32 v9, 0x3a79, v98
	v_pk_add_f16 v21, v56, v21 op_sel_hi:[0,1]
	v_fmac_f16_e32 v62, 0x34f2, v39
	v_pk_fma_f16 v6, 0x34f2bb9c, v93, v6 op_sel:[0,0,1] op_sel_hi:[1,1,0] neg_lo:[0,0,1] neg_hi:[0,0,1]
	v_fmac_f16_e32 v12, 0x34f2, v39
	v_fma_f16 v4, v99, 0xb8b4, -v4
	ds_write2_b32 v50, v80, v83 offset1:1
	ds_write_b32 v92, v53 offset:4
	ds_write_b16 v92, v51 offset:14
	ds_write_b16 v92, v33 offset:16
	v_pk_add_f16 v33, v112, v113
	v_sub_f16_e32 v2, v108, v2
	v_sub_f16_e32 v108, v112, v113
	v_add_f16_e32 v56, v65, v8
	v_add_f16_e32 v63, v62, v9
	v_pk_add_f16 v39, v21, v6
	v_sub_f16_e32 v8, v65, v8
	v_bfi_b32 v62, 0xffff, v62, v21
	v_bfi_b32 v9, 0xffff, v9, v6
	v_add_f16_e32 v64, v12, v4
	v_pack_b32_f16 v114, v54, v55
	v_alignbit_b32 v115, v33, v33, 16
	v_mad_i32_i24 v51, 0xffffffee, v0, v92
	v_lshl_add_u32 v52, v43, 1, 0
	v_lshl_add_u32 v53, v32, 1, 0
	v_pack_b32_f16 v2, v108, v2
	v_lshl_add_u32 v54, v47, 1, 0
	v_pack_b32_f16 v56, v56, v63
	v_alignbit_b32 v39, v39, v39, 16
	v_pk_add_f16 v9, v62, v9 neg_lo:[0,1] neg_hi:[0,1]
	v_pack_b32_f16 v8, v64, v8
	s_load_dwordx2 s[2:3], s[2:3], 0x0
	s_waitcnt lgkmcnt(0)
	s_barrier
	buffer_gl0_inv
	v_mad_i32_i24 v33, 0xffffffee, v28, v50
	v_mad_i32_i24 v37, 0xffffffee, v26, v49
	v_lshl_add_u32 v55, v45, 1, 0
	ds_read_u16 v87, v52
	ds_read_u16 v86, v53
	;; [unrolled: 1-line block ×4, first 2 shown]
	ds_read_u16 v83, v51 offset:1536
	ds_read_u16 v81, v51 offset:1792
	;; [unrolled: 1-line block ×8, first 2 shown]
	ds_read_u16 v59, v33
	ds_read_u16 v60, v37
	;; [unrolled: 1-line block ×3, first 2 shown]
	ds_read_u16 v82, v51 offset:3072
	ds_read_u16 v85, v51 offset:2816
	ds_read_u16 v72, v51 offset:2304
	ds_read_u16 v84, v51 offset:5376
	ds_read_u16 v89, v51 offset:5120
	ds_read_u16 v68, v51 offset:4864
	ds_read_u16 v88, v51 offset:4096
	ds_read_u16 v90, v51 offset:3840
	ds_read_u16 v78, v51 offset:3584
	ds_read_u16 v69, v51 offset:6912
	ds_read_u16 v67, v51 offset:7168
	ds_read_u16 v66, v51 offset:7424
	ds_read_u16 v75, v51 offset:6656
	ds_read_u16 v76, v51 offset:6400
	ds_read_u16 v79, v51 offset:6144
	s_waitcnt lgkmcnt(0)
	s_barrier
	buffer_gl0_inv
	ds_write2_b32 v92, v114, v115 offset1:1
	ds_write2_b32 v92, v3, v104 offset0:2 offset1:3
	ds_write_b32 v92, v2 offset:16
	ds_write2_b32 v49, v56, v39 offset1:1
	ds_write2_b32 v49, v8, v9 offset0:2 offset1:3
	v_add_f16_e32 v3, v18, v19
	v_add_f16_e32 v8, v17, v20
	;; [unrolled: 1-line block ×3, first 2 shown]
	v_sub_f16_e32 v7, v7, v11
	v_sub_f16_e32 v5, v5, v13
	v_fma_f16 v3, -0.5, v3, v15
	v_fmac_f16_e32 v15, -0.5, v8
	v_add_f16_sdwa v8, v103, v16 dst_sel:DWORD dst_unused:UNUSED_PAD src0_sel:DWORD src1_sel:WORD_1
	v_add_f16_e32 v2, v62, v18
	v_sub_f16_e32 v4, v12, v4
	v_sub_f16_e32 v9, v18, v17
	v_fmamk_f16 v11, v7, 0x3b9c, v15
	v_fmac_f16_e32 v15, 0xbb9c, v7
	v_sub_f16_e32 v12, v19, v20
	v_sub_f16_e32 v13, v17, v18
	;; [unrolled: 1-line block ×3, first 2 shown]
	v_add_f16_sdwa v8, v8, v14 dst_sel:DWORD dst_unused:UNUSED_PAD src0_sel:DWORD src1_sel:WORD_1
	v_fmamk_f16 v14, v5, 0xbb9c, v3
	v_add_f16_e32 v2, v2, v19
	v_fmac_f16_e32 v11, 0xb8b4, v5
	v_fmac_f16_e32 v15, 0x38b4, v5
	v_add_f16_e32 v9, v9, v12
	v_add_f16_e32 v12, v13, v16
	v_mul_f16_e32 v13, 0xb8b4, v107
	v_fmac_f16_e32 v14, 0xb8b4, v7
	v_and_b32_e32 v39, 0xff, v0
	v_fmac_f16_e32 v3, 0x3b9c, v5
	v_add_f16_e32 v2, v2, v20
	v_pack_b32_f16 v11, v15, v11
	v_mul_f16_e32 v9, 0x34f2, v9
	v_sub_f16_e32 v6, v21, v6
	v_add_f16_sdwa v8, v8, v10 dst_sel:DWORD dst_unused:UNUSED_PAD src0_sel:DWORD src1_sel:WORD_1
	v_fmac_f16_e32 v13, 0x3a79, v105
	v_fmac_f16_e32 v14, 0x34f2, v12
	v_mul_lo_u16 v10, 0xcd, v39
	v_pk_mul_f16 v5, 0x34f23b9c, v100
	v_fmac_f16_e32 v3, 0x38b4, v7
	v_mul_f16_e32 v7, 0x3a79, v96
	v_pk_add_f16 v9, v9, v11 op_sel_hi:[0,1]
	v_pack_b32_f16 v4, v6, v4
	v_add_f16_e32 v6, v2, v8
	v_add_f16_e32 v11, v14, v13
	v_lshrrev_b16 v63, 11, v10
	v_pk_fma_f16 v5, 0x34f2bb9c, v95, v5 op_sel:[0,0,1] op_sel_hi:[1,1,0] neg_lo:[0,0,1] neg_hi:[0,0,1]
	v_fmac_f16_e32 v3, 0x34f2, v12
	v_fma_f16 v7, v101, 0xb8b4, -v7
	v_pack_b32_f16 v6, v6, v11
	v_mul_lo_u16 v11, v63, 10
	v_pk_add_f16 v10, v9, v5
	v_sub_f16_e32 v2, v2, v8
	v_add_f16_e32 v8, v3, v7
	v_sub_f16_e32 v3, v3, v7
	v_bfi_b32 v7, 0xffff, v14, v9
	v_bfi_b32 v12, 0xffff, v13, v5
	v_sub_f16_e32 v5, v9, v5
	v_sub_nc_u16 v64, v0, v11
	v_mov_b32_e32 v18, 5
	v_and_b32_e32 v56, 0xff, v26
	v_alignbit_b32 v9, v10, v10, 16
	v_pk_add_f16 v7, v7, v12 neg_lo:[0,1] neg_hi:[0,1]
	v_pack_b32_f16 v2, v8, v2
	v_pack_b32_f16 v3, v5, v3
	v_mul_u32_u24_sdwa v5, v64, v18 dst_sel:DWORD dst_unused:UNUSED_PAD src0_sel:BYTE_0 src1_sel:DWORD
	ds_write_b32 v49, v4 offset:16
	ds_write2_b32 v50, v6, v9 offset1:1
	ds_write2_b32 v50, v2, v7 offset0:2 offset1:3
	ds_write_b32 v50, v3 offset:16
	v_mul_lo_u16 v6, 0xcd, v56
	v_mov_b32_e32 v14, 0xcccd
	s_waitcnt lgkmcnt(0)
	v_lshlrev_b32_e32 v62, 2, v5
	s_barrier
	v_lshrrev_b16 v91, 11, v6
	v_mul_u32_u24_sdwa v7, v28, v14 dst_sel:DWORD dst_unused:UNUSED_PAD src0_sel:WORD_0 src1_sel:DWORD
	buffer_gl0_inv
	global_load_dwordx4 v[2:5], v62, s[12:13]
	v_mul_u32_u24_sdwa v11, v47, v14 dst_sel:DWORD dst_unused:UNUSED_PAD src0_sel:WORD_0 src1_sel:DWORD
	v_mul_lo_u16 v6, v91, 10
	v_lshrrev_b32_e32 v92, 19, v7
	v_mul_u32_u24_sdwa v14, v45, v14 dst_sel:DWORD dst_unused:UNUSED_PAD src0_sel:WORD_0 src1_sel:DWORD
	v_cmp_gt_u32_e64 s0, 0x78, v0
	v_lshrrev_b32_e32 v95, 19, v11
	v_sub_nc_u16 v94, v26, v6
	v_mul_lo_u16 v7, v92, 10
	v_lshrrev_b32_e32 v97, 19, v14
	v_mul_lo_u16 v15, v95, 10
	v_mul_u32_u24_sdwa v6, v94, v18 dst_sel:DWORD dst_unused:UNUSED_PAD src0_sel:BYTE_0 src1_sel:DWORD
	v_sub_nc_u16 v93, v28, v7
	v_mul_lo_u16 v19, v97, 10
	v_sub_nc_u16 v96, v47, v15
	v_lshlrev_b32_e32 v65, 2, v6
	v_mul_u32_u24_sdwa v10, v93, v18 dst_sel:DWORD dst_unused:UNUSED_PAD src0_sel:WORD_0 src1_sel:DWORD
	v_sub_nc_u16 v98, v45, v19
	v_mul_u32_u24_sdwa v15, v96, v18 dst_sel:DWORD dst_unused:UNUSED_PAD src0_sel:WORD_0 src1_sel:DWORD
	global_load_dwordx4 v[6:9], v65, s[12:13]
	v_lshlrev_b32_e32 v99, 2, v10
	v_mul_u32_u24_sdwa v18, v98, v18 dst_sel:DWORD dst_unused:UNUSED_PAD src0_sel:WORD_0 src1_sel:DWORD
	v_lshlrev_b32_e32 v100, 2, v15
	global_load_dwordx4 v[10:13], v99, s[12:13]
	v_lshlrev_b32_e32 v104, 2, v18
	s_clause 0x6
	global_load_dwordx4 v[14:17], v100, s[12:13]
	global_load_dwordx4 v[18:21], v104, s[12:13]
	global_load_dword v103, v62, s[12:13] offset:16
	global_load_dword v102, v65, s[12:13] offset:16
	;; [unrolled: 1-line block ×5, first 2 shown]
	ds_read_u16 v107, v52
	ds_read_u16 v106, v53
	ds_read_u16 v104, v51 offset:3840
	ds_read_u16 v105, v51 offset:5120
	ds_read_u16 v65, v54
	ds_read_u16 v62, v55
	;; [unrolled: 1-line block ×4, first 2 shown]
	s_waitcnt vmcnt(9) lgkmcnt(7)
	v_mul_f16_sdwa v110, v107, v2 dst_sel:DWORD dst_unused:UNUSED_PAD src0_sel:DWORD src1_sel:WORD_1
	v_mul_f16_sdwa v111, v87, v2 dst_sel:DWORD dst_unused:UNUSED_PAD src0_sel:DWORD src1_sel:WORD_1
	s_waitcnt lgkmcnt(6)
	v_mul_f16_sdwa v112, v106, v3 dst_sel:DWORD dst_unused:UNUSED_PAD src0_sel:DWORD src1_sel:WORD_1
	v_mul_f16_sdwa v113, v86, v3 dst_sel:DWORD dst_unused:UNUSED_PAD src0_sel:DWORD src1_sel:WORD_1
	s_waitcnt lgkmcnt(5)
	;; [unrolled: 3-line block ×3, first 2 shown]
	v_mul_f16_sdwa v120, v105, v5 dst_sel:DWORD dst_unused:UNUSED_PAD src0_sel:DWORD src1_sel:WORD_1
	v_fma_f16 v87, v87, v2, -v110
	v_fmac_f16_e32 v111, v107, v2
	v_fma_f16 v2, v86, v3, -v112
	ds_read_u16 v86, v51 offset:5376
	ds_read_u16 v107, v51 offset:1536
	;; [unrolled: 1-line block ×8, first 2 shown]
	v_fmac_f16_e32 v113, v106, v3
	v_mul_f16_sdwa v3, v89, v5 dst_sel:DWORD dst_unused:UNUSED_PAD src0_sel:DWORD src1_sel:WORD_1
	v_fma_f16 v90, v90, v4, -v118
	v_fmac_f16_e32 v119, v104, v4
	v_fma_f16 v4, v89, v5, -v120
	ds_read_u16 v89, v51 offset:1792
	v_fmac_f16_e32 v3, v105, v5
	ds_read_u16 v5, v51 offset:2048
	ds_read_u16 v104, v51 offset:3072
	;; [unrolled: 1-line block ×4, first 2 shown]
	ds_read_u16 v118, v51
	s_waitcnt vmcnt(8)
	v_mul_f16_sdwa v121, v83, v6 dst_sel:DWORD dst_unused:UNUSED_PAD src0_sel:DWORD src1_sel:WORD_1
	v_mul_f16_sdwa v123, v85, v7 dst_sel:DWORD dst_unused:UNUSED_PAD src0_sel:DWORD src1_sel:WORD_1
	s_waitcnt lgkmcnt(12)
	v_mul_f16_sdwa v120, v107, v6 dst_sel:DWORD dst_unused:UNUSED_PAD src0_sel:DWORD src1_sel:WORD_1
	s_waitcnt lgkmcnt(11)
	;; [unrolled: 2-line block ×3, first 2 shown]
	v_mul_f16_sdwa v124, v112, v8 dst_sel:DWORD dst_unused:UNUSED_PAD src0_sel:DWORD src1_sel:WORD_1
	v_fmac_f16_e32 v121, v107, v6
	v_fmac_f16_e32 v123, v110, v7
	v_fma_f16 v120, v83, v6, -v120
	v_fma_f16 v6, v85, v7, -v122
	v_mul_f16_sdwa v7, v88, v8 dst_sel:DWORD dst_unused:UNUSED_PAD src0_sel:DWORD src1_sel:WORD_1
	v_fma_f16 v83, v88, v8, -v124
	v_mul_f16_sdwa v85, v86, v9 dst_sel:DWORD dst_unused:UNUSED_PAD src0_sel:DWORD src1_sel:WORD_1
	v_mul_f16_sdwa v107, v84, v9 dst_sel:DWORD dst_unused:UNUSED_PAD src0_sel:DWORD src1_sel:WORD_1
	s_waitcnt vmcnt(7)
	v_mul_f16_sdwa v122, v82, v11 dst_sel:DWORD dst_unused:UNUSED_PAD src0_sel:DWORD src1_sel:WORD_1
	s_waitcnt lgkmcnt(5)
	v_mul_f16_sdwa v88, v89, v10 dst_sel:DWORD dst_unused:UNUSED_PAD src0_sel:DWORD src1_sel:WORD_1
	v_fmac_f16_e32 v7, v112, v8
	v_fma_f16 v110, v84, v9, -v85
	v_mul_f16_sdwa v112, v81, v10 dst_sel:DWORD dst_unused:UNUSED_PAD src0_sel:DWORD src1_sel:WORD_1
	v_fmac_f16_e32 v107, v86, v9
	v_fma_f16 v9, v81, v10, -v88
	s_waitcnt lgkmcnt(3)
	v_mul_f16_sdwa v81, v104, v11 dst_sel:DWORD dst_unused:UNUSED_PAD src0_sel:DWORD src1_sel:WORD_1
	ds_read_u16 v8, v51 offset:5632
	v_fmac_f16_e32 v122, v104, v11
	v_fmac_f16_e32 v112, v89, v10
	v_mul_f16_sdwa v10, v114, v12 dst_sel:DWORD dst_unused:UNUSED_PAD src0_sel:DWORD src1_sel:WORD_1
	v_fma_f16 v124, v82, v11, -v81
	ds_read_u16 v11, v51 offset:5888
	v_mul_f16_sdwa v84, v80, v12 dst_sel:DWORD dst_unused:UNUSED_PAD src0_sel:DWORD src1_sel:WORD_1
	v_mul_f16_sdwa v104, v77, v13 dst_sel:DWORD dst_unused:UNUSED_PAD src0_sel:DWORD src1_sel:WORD_1
	v_fma_f16 v10, v80, v12, -v10
	ds_read_u16 v80, v51 offset:6912
	ds_read_u16 v81, v51 offset:7168
	;; [unrolled: 1-line block ×6, first 2 shown]
	s_waitcnt vmcnt(6)
	v_mul_f16_sdwa v125, v5, v14 dst_sel:DWORD dst_unused:UNUSED_PAD src0_sel:DWORD src1_sel:WORD_1
	v_mul_f16_sdwa v126, v74, v14 dst_sel:DWORD dst_unused:UNUSED_PAD src0_sel:DWORD src1_sel:WORD_1
	v_fmac_f16_e32 v84, v114, v12
	v_mul_f16_sdwa v12, v115, v16 dst_sel:DWORD dst_unused:UNUSED_PAD src0_sel:DWORD src1_sel:WORD_1
	s_waitcnt vmcnt(5)
	v_mul_f16_sdwa v128, v72, v18 dst_sel:DWORD dst_unused:UNUSED_PAD src0_sel:DWORD src1_sel:WORD_1
	v_mul_f16_sdwa v129, v78, v19 dst_sel:DWORD dst_unused:UNUSED_PAD src0_sel:DWORD src1_sel:WORD_1
	v_fmac_f16_e32 v126, v5, v14
	s_waitcnt lgkmcnt(10)
	v_mul_f16_sdwa v5, v105, v15 dst_sel:DWORD dst_unused:UNUSED_PAD src0_sel:DWORD src1_sel:WORD_1
	v_add_f16_e32 v131, v112, v84
	s_waitcnt lgkmcnt(9)
	v_fmac_f16_e32 v128, v106, v18
	s_waitcnt lgkmcnt(7)
	v_mul_f16_sdwa v89, v8, v13 dst_sel:DWORD dst_unused:UNUSED_PAD src0_sel:DWORD src1_sel:WORD_1
	v_fmac_f16_e32 v104, v8, v13
	v_fma_f16 v8, v74, v14, -v125
	v_mul_f16_sdwa v125, v70, v15 dst_sel:DWORD dst_unused:UNUSED_PAD src0_sel:DWORD src1_sel:WORD_1
	v_fma_f16 v127, v70, v15, -v5
	s_waitcnt lgkmcnt(6)
	v_mul_f16_sdwa v14, v11, v17 dst_sel:DWORD dst_unused:UNUSED_PAD src0_sel:DWORD src1_sel:WORD_1
	v_fma_f16 v114, v77, v13, -v89
	v_mul_f16_sdwa v13, v73, v16 dst_sel:DWORD dst_unused:UNUSED_PAD src0_sel:DWORD src1_sel:WORD_1
	v_fmac_f16_e32 v125, v105, v15
	v_fma_f16 v5, v73, v16, -v12
	v_fma_f16 v105, v71, v17, -v14
	v_mul_f16_sdwa v14, v117, v19 dst_sel:DWORD dst_unused:UNUSED_PAD src0_sel:DWORD src1_sel:WORD_1
	v_fmac_f16_e32 v13, v115, v16
	v_mul_f16_sdwa v115, v71, v17 dst_sel:DWORD dst_unused:UNUSED_PAD src0_sel:DWORD src1_sel:WORD_1
	v_mul_f16_sdwa v12, v106, v18 dst_sel:DWORD dst_unused:UNUSED_PAD src0_sel:DWORD src1_sel:WORD_1
	s_waitcnt lgkmcnt(2)
	v_mul_f16_sdwa v15, v85, v21 dst_sel:DWORD dst_unused:UNUSED_PAD src0_sel:DWORD src1_sel:WORD_1
	v_fma_f16 v106, v78, v19, -v14
	v_mul_f16_sdwa v14, v68, v20 dst_sel:DWORD dst_unused:UNUSED_PAD src0_sel:DWORD src1_sel:WORD_1
	v_fmac_f16_e32 v115, v11, v17
	v_fma_f16 v11, v72, v18, -v12
	v_fmac_f16_e32 v129, v117, v19
	v_mul_f16_sdwa v12, v116, v20 dst_sel:DWORD dst_unused:UNUSED_PAD src0_sel:DWORD src1_sel:WORD_1
	v_mul_f16_sdwa v117, v79, v21 dst_sel:DWORD dst_unused:UNUSED_PAD src0_sel:DWORD src1_sel:WORD_1
	s_waitcnt vmcnt(4) lgkmcnt(0)
	v_mul_f16_sdwa v16, v88, v103 dst_sel:DWORD dst_unused:UNUSED_PAD src0_sel:DWORD src1_sel:WORD_1
	v_fmac_f16_e32 v14, v116, v20
	v_fma_f16 v116, v79, v21, -v15
	v_mul_f16_sdwa v15, v76, v103 dst_sel:DWORD dst_unused:UNUSED_PAD src0_sel:DWORD src1_sel:WORD_1
	v_fma_f16 v12, v68, v20, -v12
	v_fmac_f16_e32 v117, v85, v21
	s_waitcnt vmcnt(3)
	v_mul_f16_sdwa v17, v86, v102 dst_sel:DWORD dst_unused:UNUSED_PAD src0_sel:DWORD src1_sel:WORD_1
	v_fma_f16 v16, v76, v103, -v16
	v_mul_f16_sdwa v21, v75, v102 dst_sel:DWORD dst_unused:UNUSED_PAD src0_sel:DWORD src1_sel:WORD_1
	s_waitcnt vmcnt(2)
	v_mul_f16_sdwa v18, v80, v101 dst_sel:DWORD dst_unused:UNUSED_PAD src0_sel:DWORD src1_sel:WORD_1
	v_fmac_f16_e32 v15, v88, v103
	v_mul_f16_sdwa v103, v69, v101 dst_sel:DWORD dst_unused:UNUSED_PAD src0_sel:DWORD src1_sel:WORD_1
	s_waitcnt vmcnt(1)
	v_mul_f16_sdwa v19, v81, v100 dst_sel:DWORD dst_unused:UNUSED_PAD src0_sel:DWORD src1_sel:WORD_1
	s_waitcnt vmcnt(0)
	v_mul_f16_sdwa v20, v82, v99 dst_sel:DWORD dst_unused:UNUSED_PAD src0_sel:DWORD src1_sel:WORD_1
	v_fma_f16 v17, v75, v102, -v17
	v_fmac_f16_e32 v21, v86, v102
	v_fma_f16 v18, v69, v101, -v18
	v_mul_f16_sdwa v102, v67, v100 dst_sel:DWORD dst_unused:UNUSED_PAD src0_sel:DWORD src1_sel:WORD_1
	v_fmac_f16_e32 v103, v80, v101
	v_mul_f16_sdwa v101, v66, v99 dst_sel:DWORD dst_unused:UNUSED_PAD src0_sel:DWORD src1_sel:WORD_1
	v_fma_f16 v19, v67, v100, -v19
	v_add_f16_e32 v67, v2, v4
	v_fma_f16 v20, v66, v99, -v20
	v_add_f16_e32 v66, v113, v3
	v_add_f16_e32 v68, v61, v2
	v_sub_f16_e32 v69, v113, v3
	v_fmac_f16_e32 v61, -0.5, v67
	v_add_f16_e32 v67, v118, v113
	v_fmac_f16_e32 v118, -0.5, v66
	v_add_f16_e32 v66, v68, v4
	v_sub_f16_e32 v2, v2, v4
	v_add_f16_e32 v4, v90, v16
	v_add_f16_e32 v70, v119, v15
	v_fmamk_f16 v68, v69, 0x3aee, v61
	v_fmac_f16_e32 v61, 0xbaee, v69
	v_add_f16_e32 v69, v87, v90
	v_fmac_f16_e32 v87, -0.5, v4
	v_add_f16_e32 v4, v111, v119
	v_fmac_f16_e32 v111, -0.5, v70
	v_sub_f16_e32 v70, v90, v16
	v_sub_f16_e32 v71, v119, v15
	v_add_f16_e32 v3, v67, v3
	v_fmamk_f16 v67, v2, 0xbaee, v118
	v_fmac_f16_e32 v118, 0x3aee, v2
	v_fmamk_f16 v2, v70, 0xbaee, v111
	v_fmac_f16_e32 v111, 0x3aee, v70
	;; [unrolled: 2-line block ×3, first 2 shown]
	v_add_f16_e32 v16, v69, v16
	v_mul_f16_e32 v69, 0x3aee, v2
	v_mul_f16_e32 v73, -0.5, v111
	v_add_f16_e32 v4, v4, v15
	v_mul_f16_e32 v70, 0xbaee, v72
	v_mul_f16_e32 v71, -0.5, v87
	v_fmac_f16_e32 v69, 0.5, v72
	v_fmac_f16_e32 v73, 0xbaee, v87
	v_add_f16_e32 v90, v3, v4
	v_sub_f16_e32 v4, v3, v4
	v_add_f16_e32 v3, v7, v21
	v_fmac_f16_e32 v70, 0.5, v2
	v_fmac_f16_e32 v71, 0x3aee, v111
	v_add_f16_e32 v2, v66, v16
	v_sub_f16_e32 v15, v66, v16
	v_add_f16_e32 v16, v68, v69
	v_sub_f16_e32 v66, v68, v69
	;; [unrolled: 2-line block ×3, first 2 shown]
	v_add_f16_e32 v69, v83, v17
	v_add_f16_e32 v118, v121, v7
	v_fmac_f16_e32 v121, -0.5, v3
	v_sub_f16_e32 v3, v83, v17
	v_fmac_f16_e32 v102, v81, v100
	v_fmac_f16_e32 v101, v82, v99
	v_add_f16_e32 v99, v67, v70
	v_sub_f16_e32 v100, v67, v70
	v_add_f16_e32 v67, v6, v110
	v_add_f16_e32 v70, v120, v83
	v_fmac_f16_e32 v120, -0.5, v69
	v_sub_f16_e32 v7, v7, v21
	v_fmamk_f16 v119, v3, 0xbaee, v121
	v_add_f16_e32 v69, v60, v6
	v_fmac_f16_e32 v60, -0.5, v67
	v_sub_f16_e32 v67, v123, v107
	v_fmamk_f16 v130, v7, 0x3aee, v120
	v_fmac_f16_e32 v120, 0xbaee, v7
	v_add_f16_e32 v7, v70, v17
	v_mul_f16_e32 v17, 0x3aee, v119
	v_fmac_f16_e32 v121, 0x3aee, v3
	v_add_f16_e32 v3, v69, v110
	v_fmamk_f16 v70, v67, 0x3aee, v60
	v_fmac_f16_e32 v60, 0xbaee, v67
	v_fmac_f16_e32 v17, 0.5, v130
	v_add_f16_e32 v72, v84, v103
	v_add_f16_e32 v67, v3, v7
	v_sub_f16_e32 v3, v3, v7
	v_mul_f16_e32 v69, -0.5, v120
	v_add_f16_e32 v7, v70, v17
	v_sub_f16_e32 v17, v70, v17
	v_add_f16_e32 v70, v10, v18
	v_add_f16_e32 v74, v9, v10
	v_fmac_f16_e32 v112, -0.5, v72
	v_sub_f16_e32 v10, v10, v18
	v_fmac_f16_e32 v69, 0x3aee, v121
	v_fmac_f16_e32 v9, -0.5, v70
	v_sub_f16_e32 v70, v84, v103
	v_add_f16_e32 v73, v124, v114
	v_fmamk_f16 v132, v10, 0xbaee, v112
	v_add_f16_e32 v68, v61, v71
	v_sub_f16_e32 v61, v61, v71
	v_fmamk_f16 v133, v70, 0x3aee, v9
	v_fmac_f16_e32 v9, 0xbaee, v70
	v_add_f16_e32 v71, v60, v69
	v_sub_f16_e32 v60, v60, v69
	v_add_f16_e32 v69, v59, v124
	v_fmac_f16_e32 v59, -0.5, v73
	v_sub_f16_e32 v70, v122, v104
	v_mul_f16_e32 v72, 0x3aee, v132
	v_fmac_f16_e32 v112, 0x3aee, v10
	v_mul_f16_e32 v10, -0.5, v9
	v_add_f16_e32 v18, v74, v18
	v_add_f16_e32 v69, v69, v114
	v_fmamk_f16 v73, v70, 0x3aee, v59
	v_fmac_f16_e32 v72, 0.5, v133
	v_fmac_f16_e32 v59, 0xbaee, v70
	v_fmac_f16_e32 v10, 0x3aee, v112
	v_add_f16_e32 v70, v69, v18
	v_sub_f16_e32 v18, v69, v18
	v_add_f16_e32 v69, v73, v72
	v_sub_f16_e32 v72, v73, v72
	;; [unrolled: 2-line block ×3, first 2 shown]
	v_add_f16_e32 v59, v13, v102
	v_add_f16_e32 v75, v5, v19
	;; [unrolled: 1-line block ×4, first 2 shown]
	v_sub_f16_e32 v5, v5, v19
	v_fmac_f16_e32 v126, -0.5, v59
	v_fmac_f16_e32 v8, -0.5, v75
	v_sub_f16_e32 v13, v13, v102
	v_add_f16_e32 v74, v127, v105
	v_add_f16_e32 v59, v58, v127
	v_fmamk_f16 v135, v5, 0xbaee, v126
	v_fmac_f16_e32 v126, 0x3aee, v5
	v_fmamk_f16 v136, v13, 0x3aee, v8
	v_fmac_f16_e32 v8, 0xbaee, v13
	v_fmac_f16_e32 v58, -0.5, v74
	v_sub_f16_e32 v74, v125, v115
	v_add_f16_e32 v13, v76, v19
	v_mul_f16_e32 v19, 0x3aee, v135
	v_add_f16_e32 v5, v59, v105
	v_mul_f16_e32 v59, -0.5, v8
	v_add_f16_e32 v76, v106, v116
	v_fmamk_f16 v75, v74, 0x3aee, v58
	v_fmac_f16_e32 v19, 0.5, v136
	v_fmac_f16_e32 v58, 0xbaee, v74
	v_fmac_f16_e32 v59, 0x3aee, v126
	v_add_f16_e32 v77, v57, v106
	v_fmac_f16_e32 v57, -0.5, v76
	v_add_f16_e32 v76, v14, v101
	v_sub_f16_e32 v79, v129, v117
	v_add_f16_e32 v80, v11, v12
	v_add_f16_e32 v74, v5, v13
	v_sub_f16_e32 v5, v5, v13
	v_add_f16_e32 v13, v75, v19
	v_sub_f16_e32 v19, v75, v19
	v_add_f16_e32 v75, v58, v59
	v_add_f16_e32 v78, v12, v20
	;; [unrolled: 1-line block ×3, first 2 shown]
	v_fmac_f16_e32 v128, -0.5, v76
	v_sub_f16_e32 v12, v12, v20
	v_sub_f16_e32 v58, v58, v59
	v_fmamk_f16 v59, v79, 0x3aee, v57
	v_add_f16_e32 v76, v80, v20
	v_fmac_f16_e32 v57, 0xbaee, v79
	v_mov_b32_e32 v79, 0x78
	v_mov_b32_e32 v20, 1
	v_fmac_f16_e32 v11, -0.5, v78
	v_sub_f16_e32 v14, v14, v101
	v_fmamk_f16 v139, v12, 0xbaee, v128
	v_mul_u32_u24_sdwa v63, v63, v79 dst_sel:DWORD dst_unused:UNUSED_PAD src0_sel:WORD_0 src1_sel:DWORD
	v_lshlrev_b32_sdwa v64, v20, v64 dst_sel:DWORD dst_unused:UNUSED_PAD src0_sel:DWORD src1_sel:BYTE_0
	v_fmamk_f16 v138, v14, 0x3aee, v11
	v_fmac_f16_e32 v11, 0xbaee, v14
	s_barrier
	v_add3_u32 v140, 0, v63, v64
	v_mul_u32_u24_sdwa v63, v91, v79 dst_sel:DWORD dst_unused:UNUSED_PAD src0_sel:WORD_0 src1_sel:DWORD
	v_lshlrev_b32_sdwa v64, v20, v94 dst_sel:DWORD dst_unused:UNUSED_PAD src0_sel:DWORD src1_sel:BYTE_0
	buffer_gl0_inv
	ds_write_b16 v140, v2
	ds_write_b16 v140, v16 offset:20
	ds_write_b16 v140, v68 offset:40
	;; [unrolled: 1-line block ×3, first 2 shown]
	v_add3_u32 v91, 0, v63, v64
	v_mul_u32_u24_e32 v2, 0x78, v92
	v_lshlrev_b32_sdwa v15, v20, v93 dst_sel:DWORD dst_unused:UNUSED_PAD src0_sel:DWORD src1_sel:WORD_0
	v_fmac_f16_e32 v128, 0x3aee, v12
	v_mul_f16_e32 v12, 0x3aee, v139
	v_mul_f16_e32 v78, -0.5, v11
	ds_write_b16 v140, v66 offset:80
	ds_write_b16 v140, v61 offset:100
	ds_write_b16 v91, v67
	ds_write_b16 v91, v7 offset:20
	v_add3_u32 v7, 0, v2, v15
	ds_write_b16 v91, v71 offset:40
	ds_write_b16 v91, v3 offset:60
	v_mul_u32_u24_e32 v2, 0x78, v95
	v_lshlrev_b32_sdwa v3, v20, v96 dst_sel:DWORD dst_unused:UNUSED_PAD src0_sel:DWORD src1_sel:WORD_0
	v_add_f16_e32 v77, v77, v116
	v_fmac_f16_e32 v12, 0.5, v138
	v_fmac_f16_e32 v78, 0x3aee, v128
	ds_write_b16 v91, v17 offset:80
	ds_write_b16 v91, v60 offset:100
	ds_write_b16 v7, v70
	ds_write_b16 v7, v69 offset:20
	v_add3_u32 v60, 0, v2, v3
	v_mul_u32_u24_e32 v2, 0x78, v97
	v_lshlrev_b32_sdwa v3, v20, v98 dst_sel:DWORD dst_unused:UNUSED_PAD src0_sel:DWORD src1_sel:WORD_0
	v_add_f16_e32 v14, v77, v76
	v_sub_f16_e32 v76, v77, v76
	v_add_f16_e32 v77, v59, v12
	v_sub_f16_e32 v12, v59, v12
	;; [unrolled: 2-line block ×3, first 2 shown]
	ds_write_b16 v7, v73 offset:40
	ds_write_b16 v7, v18 offset:60
	;; [unrolled: 1-line block ×4, first 2 shown]
	ds_write_b16 v60, v74
	ds_write_b16 v60, v13 offset:20
	v_add3_u32 v10, 0, v2, v3
	ds_write_b16 v60, v75 offset:40
	ds_write_b16 v60, v5 offset:60
	;; [unrolled: 1-line block ×4, first 2 shown]
	ds_write_b16 v10, v14
	ds_write_b16 v10, v77 offset:20
	ds_write_b16 v10, v59 offset:40
	;; [unrolled: 1-line block ×5, first 2 shown]
	v_lshl_add_u32 v16, v35, 1, 0
	v_add_f16_e32 v57, v123, v107
	v_lshl_add_u32 v17, v36, 1, 0
	v_add_f16_e32 v58, v109, v123
	v_lshl_add_u32 v18, v38, 1, 0
	s_waitcnt lgkmcnt(0)
	s_barrier
	buffer_gl0_inv
	ds_read_u16 v66, v52
	v_lshl_add_u32 v12, v41, 1, 0
	v_lshl_add_u32 v13, v30, 1, 0
	;; [unrolled: 1-line block ×4, first 2 shown]
	ds_read_u16 v74, v51
	ds_read_u16 v89, v51 offset:3840
	ds_read_u16 v86, v51 offset:4096
	ds_read_u16 v85, v51 offset:4352
	ds_read_u16 v82, v51 offset:4608
	ds_read_u16 v81, v51 offset:4864
	ds_read_u16 v78, v51 offset:5120
	ds_read_u16 v75, v51 offset:5376
	ds_read_u16 v69, v12
	ds_read_u16 v68, v13
	;; [unrolled: 1-line block ×7, first 2 shown]
	v_lshl_add_u32 v19, v40, 1, 0
	ds_read_u16 v63, v16
	ds_read_u16 v5, v17
	;; [unrolled: 1-line block ×6, first 2 shown]
	ds_read_u16 v88, v51 offset:5632
	ds_read_u16 v87, v51 offset:5888
	;; [unrolled: 1-line block ×8, first 2 shown]
	s_waitcnt lgkmcnt(0)
	s_barrier
	buffer_gl0_inv
	ds_write_b16 v140, v90
	ds_write_b16 v140, v99 offset:20
	ds_write_b16 v140, v111 offset:40
	;; [unrolled: 1-line block ×3, first 2 shown]
	v_fmac_f16_e32 v109, -0.5, v57
	v_sub_f16_e32 v4, v6, v110
	v_mul_f16_e32 v57, 0xbaee, v130
	v_add_f16_e32 v6, v58, v107
	v_mul_f16_e32 v58, -0.5, v121
	v_add_f16_e32 v21, v118, v21
	v_fmamk_f16 v59, v4, 0xbaee, v109
	v_fmac_f16_e32 v57, 0.5, v119
	v_fmac_f16_e32 v109, 0x3aee, v4
	v_fmac_f16_e32 v58, 0xbaee, v120
	v_add_f16_e32 v4, v6, v21
	v_sub_f16_e32 v6, v6, v21
	v_add_f16_e32 v21, v59, v57
	ds_write_b16 v140, v100 offset:80
	v_add_f16_e32 v90, v109, v58
	ds_write_b16 v140, v113 offset:100
	ds_write_b16 v91, v4
	ds_write_b16 v91, v21 offset:20
	ds_write_b16 v91, v90 offset:40
	v_add_f16_e32 v4, v122, v104
	v_sub_f16_e32 v57, v59, v57
	v_sub_f16_e32 v58, v109, v58
	ds_write_b16 v91, v6 offset:60
	ds_write_b16 v91, v57 offset:80
	v_add_f16_e32 v6, v108, v122
	v_fmac_f16_e32 v108, -0.5, v4
	v_sub_f16_e32 v4, v124, v114
	v_mul_f16_e32 v21, 0xbaee, v133
	v_mul_f16_e32 v57, -0.5, v112
	ds_write_b16 v91, v58 offset:100
	v_add_f16_e32 v6, v6, v104
	v_add_f16_e32 v58, v131, v103
	v_fmamk_f16 v59, v4, 0xbaee, v108
	v_fmac_f16_e32 v21, 0.5, v132
	v_fmac_f16_e32 v108, 0x3aee, v4
	v_fmac_f16_e32 v57, 0xbaee, v9
	v_add_f16_e32 v4, v6, v58
	v_sub_f16_e32 v6, v6, v58
	v_add_f16_e32 v9, v59, v21
	v_sub_f16_e32 v21, v59, v21
	v_add_f16_e32 v58, v108, v57
	ds_write_b16 v7, v4
	v_add_f16_e32 v4, v125, v115
	ds_write_b16 v7, v9 offset:20
	ds_write_b16 v7, v58 offset:40
	v_add_f16_e32 v9, v65, v125
	ds_write_b16 v7, v6 offset:60
	v_fmac_f16_e32 v65, -0.5, v4
	v_sub_f16_e32 v4, v127, v105
	ds_write_b16 v7, v21 offset:80
	v_add_f16_e32 v6, v9, v115
	v_mul_f16_e32 v9, 0xbaee, v136
	v_mul_f16_e32 v21, -0.5, v126
	v_add_f16_e32 v59, v134, v102
	v_sub_f16_e32 v57, v108, v57
	v_fmamk_f16 v58, v4, 0xbaee, v65
	v_fmac_f16_e32 v9, 0.5, v135
	v_fmac_f16_e32 v65, 0x3aee, v4
	v_fmac_f16_e32 v21, 0xbaee, v8
	v_add_f16_e32 v4, v6, v59
	ds_write_b16 v7, v57 offset:100
	v_add_f16_e32 v7, v58, v9
	v_sub_f16_e32 v6, v6, v59
	v_add_f16_e32 v8, v65, v21
	ds_write_b16 v60, v4
	ds_write_b16 v60, v7 offset:20
	ds_write_b16 v60, v8 offset:40
	v_add_f16_e32 v4, v129, v117
	v_sub_f16_e32 v9, v58, v9
	ds_write_b16 v60, v6 offset:60
	v_add_f16_e32 v6, v62, v129
	v_mul_f16_e32 v7, 0xbaee, v138
	v_fmac_f16_e32 v62, -0.5, v4
	v_sub_f16_e32 v4, v106, v116
	v_mul_f16_e32 v8, -0.5, v128
	v_sub_f16_e32 v21, v65, v21
	ds_write_b16 v60, v9 offset:80
	ds_write_b16 v60, v21 offset:100
	v_add_f16_e32 v6, v6, v117
	v_add_f16_e32 v9, v137, v101
	v_fmamk_f16 v21, v4, 0xbaee, v62
	v_fmac_f16_e32 v62, 0x3aee, v4
	v_fmac_f16_e32 v7, 0.5, v139
	v_fmac_f16_e32 v8, 0xbaee, v11
	v_mul_lo_u16 v11, 0x89, v39
	v_add_f16_e32 v4, v6, v9
	v_sub_f16_e32 v6, v6, v9
	v_add_f16_e32 v9, v21, v7
	v_sub_f16_e32 v7, v21, v7
	v_add_f16_e32 v21, v62, v8
	v_lshrrev_b16 v65, 13, v11
	v_mov_b32_e32 v60, 0x8889
	v_sub_f16_e32 v8, v62, v8
	ds_write_b16 v10, v4
	ds_write_b16 v10, v9 offset:20
	v_mul_lo_u16 v4, 0x89, v56
	v_mul_lo_u16 v9, v65, 60
	ds_write_b16 v10, v21 offset:40
	ds_write_b16 v10, v6 offset:60
	;; [unrolled: 1-line block ×3, first 2 shown]
	v_mul_u32_u24_sdwa v62, v28, v60 dst_sel:DWORD dst_unused:UNUSED_PAD src0_sel:WORD_0 src1_sel:DWORD
	v_mul_u32_u24_sdwa v7, v47, v60 dst_sel:DWORD dst_unused:UNUSED_PAD src0_sel:WORD_0 src1_sel:DWORD
	v_lshrrev_b16 v90, 13, v4
	v_sub_nc_u16 v96, v0, v9
	v_mul_u32_u24_sdwa v9, v45, v60 dst_sel:DWORD dst_unused:UNUSED_PAD src0_sel:WORD_0 src1_sel:DWORD
	v_lshrrev_b32_e32 v92, 21, v62
	v_lshrrev_b32_e32 v91, 21, v7
	ds_write_b16 v10, v8 offset:100
	v_mul_lo_u16 v6, v90, 60
	v_lshrrev_b32_e32 v93, 21, v9
	v_mul_lo_u16 v8, v92, 60
	v_mul_lo_u16 v10, v91, 60
	v_mov_b32_e32 v21, 2
	v_sub_nc_u16 v97, v26, v6
	v_mul_u32_u24_sdwa v6, v43, v60 dst_sel:DWORD dst_unused:UNUSED_PAD src0_sel:WORD_0 src1_sel:DWORD
	v_sub_nc_u16 v98, v28, v8
	v_sub_nc_u16 v99, v47, v10
	v_mul_lo_u16 v10, v93, 60
	v_lshlrev_b32_sdwa v11, v21, v96 dst_sel:DWORD dst_unused:UNUSED_PAD src0_sel:DWORD src1_sel:BYTE_0
	v_lshlrev_b32_sdwa v39, v21, v97 dst_sel:DWORD dst_unused:UNUSED_PAD src0_sel:DWORD src1_sel:BYTE_0
	v_lshlrev_b32_sdwa v56, v21, v98 dst_sel:DWORD dst_unused:UNUSED_PAD src0_sel:DWORD src1_sel:WORD_0
	v_lshrrev_b32_e32 v94, 21, v6
	v_lshlrev_b32_sdwa v58, v21, v99 dst_sel:DWORD dst_unused:UNUSED_PAD src0_sel:DWORD src1_sel:WORD_0
	v_sub_nc_u16 v100, v45, v10
	v_mul_u32_u24_sdwa v10, v30, v60 dst_sel:DWORD dst_unused:UNUSED_PAD src0_sel:WORD_0 src1_sel:DWORD
	v_mul_u32_u24_sdwa v8, v41, v60 dst_sel:DWORD dst_unused:UNUSED_PAD src0_sel:WORD_0 src1_sel:DWORD
	s_waitcnt lgkmcnt(0)
	s_barrier
	buffer_gl0_inv
	v_mul_lo_u16 v57, v94, 60
	s_clause 0x3
	global_load_dword v102, v11, s[12:13] offset:200
	global_load_dword v105, v39, s[12:13] offset:200
	;; [unrolled: 1-line block ×4, first 2 shown]
	v_lshrrev_b32_e32 v95, 21, v10
	v_mul_u32_u24_sdwa v11, v31, v60 dst_sel:DWORD dst_unused:UNUSED_PAD src0_sel:WORD_0 src1_sel:DWORD
	v_lshrrev_b32_e32 v101, 21, v8
	v_sub_nc_u16 v103, v43, v57
	v_mul_u32_u24_sdwa v57, v34, v60 dst_sel:DWORD dst_unused:UNUSED_PAD src0_sel:WORD_0 src1_sel:DWORD
	v_mul_lo_u16 v39, v95, 60
	v_lshrrev_b32_e32 v107, 21, v11
	v_mul_lo_u16 v104, v101, 60
	v_lshlrev_b32_sdwa v59, v21, v100 dst_sel:DWORD dst_unused:UNUSED_PAD src0_sel:DWORD src1_sel:WORD_0
	v_lshrrev_b32_e32 v110, 21, v57
	v_sub_nc_u16 v108, v30, v39
	v_mul_lo_u16 v39, v107, 60
	v_lshlrev_b32_sdwa v56, v21, v103 dst_sel:DWORD dst_unused:UNUSED_PAD src0_sel:DWORD src1_sel:WORD_0
	v_sub_nc_u16 v104, v41, v104
	global_load_dword v111, v59, s[12:13] offset:200
	v_lshlrev_b32_sdwa v112, v21, v108 dst_sel:DWORD dst_unused:UNUSED_PAD src0_sel:DWORD src1_sel:WORD_0
	v_sub_nc_u16 v113, v31, v39
	global_load_dword v115, v56, s[12:13] offset:200
	v_mul_lo_u16 v39, v110, 60
	v_lshlrev_b32_sdwa v59, v21, v104 dst_sel:DWORD dst_unused:UNUSED_PAD src0_sel:DWORD src1_sel:WORD_0
	v_mul_u32_u24_sdwa v58, v32, v60 dst_sel:DWORD dst_unused:UNUSED_PAD src0_sel:WORD_0 src1_sel:DWORD
	v_mul_u32_u24_sdwa v56, v35, v60 dst_sel:DWORD dst_unused:UNUSED_PAD src0_sel:WORD_0 src1_sel:DWORD
	s_clause 0x1
	global_load_dword v116, v59, s[12:13] offset:200
	global_load_dword v112, v112, s[12:13] offset:200
	v_sub_nc_u16 v118, v34, v39
	v_mul_u32_u24_sdwa v39, v36, v60 dst_sel:DWORD dst_unused:UNUSED_PAD src0_sel:WORD_0 src1_sel:DWORD
	v_mul_u32_u24_sdwa v59, v38, v60 dst_sel:DWORD dst_unused:UNUSED_PAD src0_sel:WORD_0 src1_sel:DWORD
	v_lshrrev_b32_e32 v114, 21, v58
	v_lshrrev_b32_e32 v120, 21, v56
	v_lshlrev_b32_sdwa v117, v21, v113 dst_sel:DWORD dst_unused:UNUSED_PAD src0_sel:DWORD src1_sel:WORD_0
	v_lshrrev_b32_e32 v123, 21, v39
	v_lshrrev_b32_e32 v124, 21, v59
	v_mul_lo_u16 v119, v114, 60
	v_mul_lo_u16 v122, v120, 60
	v_mul_u32_u24_sdwa v60, v40, v60 dst_sel:DWORD dst_unused:UNUSED_PAD src0_sel:WORD_0 src1_sel:DWORD
	v_mul_lo_u16 v126, v123, 60
	v_mul_lo_u16 v127, v124, 60
	v_sub_nc_u16 v119, v32, v119
	v_sub_nc_u16 v122, v35, v122
	v_lshlrev_b32_sdwa v121, v21, v118 dst_sel:DWORD dst_unused:UNUSED_PAD src0_sel:DWORD src1_sel:WORD_0
	v_sub_nc_u16 v126, v36, v126
	global_load_dword v117, v117, s[12:13] offset:200
	v_lshrrev_b32_e32 v128, 21, v60
	v_sub_nc_u16 v127, v38, v127
	global_load_dword v121, v121, s[12:13] offset:200
	v_lshlrev_b32_sdwa v125, v21, v119 dst_sel:DWORD dst_unused:UNUSED_PAD src0_sel:DWORD src1_sel:WORD_0
	v_lshlrev_b32_sdwa v129, v21, v122 dst_sel:DWORD dst_unused:UNUSED_PAD src0_sel:DWORD src1_sel:WORD_0
	;; [unrolled: 1-line block ×3, first 2 shown]
	v_mul_lo_u16 v130, v128, 60
	v_lshlrev_b32_sdwa v132, v21, v127 dst_sel:DWORD dst_unused:UNUSED_PAD src0_sel:DWORD src1_sel:WORD_0
	s_clause 0x3
	global_load_dword v125, v125, s[12:13] offset:200
	global_load_dword v129, v129, s[12:13] offset:200
	;; [unrolled: 1-line block ×4, first 2 shown]
	v_sub_nc_u16 v130, v40, v130
	v_lshlrev_b32_sdwa v96, v20, v96 dst_sel:DWORD dst_unused:UNUSED_PAD src0_sel:DWORD src1_sel:BYTE_0
	v_lshrrev_b16 v4, 14, v4
	v_lshrrev_b32_e32 v62, 22, v62
	v_lshlrev_b32_sdwa v133, v21, v130 dst_sel:DWORD dst_unused:UNUSED_PAD src0_sel:DWORD src1_sel:WORD_0
	global_load_dword v133, v133, s[12:13] offset:200
	ds_read_u16 v134, v51 offset:3840
	ds_read_u16 v135, v51 offset:4096
	;; [unrolled: 1-line block ×7, first 2 shown]
	ds_read_u16 v141, v51
	s_waitcnt vmcnt(14) lgkmcnt(7)
	v_mul_f16_sdwa v142, v134, v102 dst_sel:DWORD dst_unused:UNUSED_PAD src0_sel:DWORD src1_sel:WORD_1
	v_mul_f16_sdwa v143, v89, v102 dst_sel:DWORD dst_unused:UNUSED_PAD src0_sel:DWORD src1_sel:WORD_1
	s_waitcnt vmcnt(13)
	v_mul_f16_sdwa v144, v86, v105 dst_sel:DWORD dst_unused:UNUSED_PAD src0_sel:DWORD src1_sel:WORD_1
	s_waitcnt vmcnt(12) lgkmcnt(5)
	v_mul_f16_sdwa v145, v136, v106 dst_sel:DWORD dst_unused:UNUSED_PAD src0_sel:DWORD src1_sel:WORD_1
	v_fma_f16 v89, v89, v102, -v142
	v_mul_f16_sdwa v142, v135, v105 dst_sel:DWORD dst_unused:UNUSED_PAD src0_sel:DWORD src1_sel:WORD_1
	v_fmac_f16_e32 v143, v134, v102
	v_mul_f16_sdwa v102, v85, v106 dst_sel:DWORD dst_unused:UNUSED_PAD src0_sel:DWORD src1_sel:WORD_1
	v_fmac_f16_e32 v144, v135, v105
	ds_read_u16 v134, v51 offset:5632
	v_fma_f16 v86, v86, v105, -v142
	s_waitcnt vmcnt(11) lgkmcnt(5)
	v_mul_f16_sdwa v105, v137, v109 dst_sel:DWORD dst_unused:UNUSED_PAD src0_sel:DWORD src1_sel:WORD_1
	v_fma_f16 v85, v85, v106, -v145
	v_fmac_f16_e32 v102, v136, v106
	v_mul_f16_sdwa v106, v82, v109 dst_sel:DWORD dst_unused:UNUSED_PAD src0_sel:DWORD src1_sel:WORD_1
	v_sub_f16_e32 v89, v74, v89
	v_fma_f16 v82, v82, v109, -v105
	ds_read_u16 v105, v51 offset:5888
	s_waitcnt vmcnt(10) lgkmcnt(5)
	v_mul_f16_sdwa v135, v138, v111 dst_sel:DWORD dst_unused:UNUSED_PAD src0_sel:DWORD src1_sel:WORD_1
	v_fmac_f16_e32 v106, v137, v109
	ds_read_u16 v137, v51 offset:6144
	v_mul_f16_sdwa v109, v81, v111 dst_sel:DWORD dst_unused:UNUSED_PAD src0_sel:DWORD src1_sel:WORD_1
	s_waitcnt vmcnt(9)
	v_mul_f16_sdwa v136, v78, v115 dst_sel:DWORD dst_unused:UNUSED_PAD src0_sel:DWORD src1_sel:WORD_1
	v_fma_f16 v81, v81, v111, -v135
	s_waitcnt lgkmcnt(5)
	v_mul_f16_sdwa v135, v139, v115 dst_sel:DWORD dst_unused:UNUSED_PAD src0_sel:DWORD src1_sel:WORD_1
	v_sub_f16_e32 v85, v72, v85
	v_fmac_f16_e32 v109, v138, v111
	ds_read_u16 v111, v51 offset:6400
	v_fmac_f16_e32 v136, v139, v115
	ds_read_u16 v138, v51 offset:6656
	ds_read_u16 v139, v51 offset:6912
	;; [unrolled: 1-line block ×4, first 2 shown]
	v_fma_f16 v78, v78, v115, -v135
	s_waitcnt vmcnt(8) lgkmcnt(9)
	v_mul_f16_sdwa v115, v140, v116 dst_sel:DWORD dst_unused:UNUSED_PAD src0_sel:DWORD src1_sel:WORD_1
	s_waitcnt vmcnt(7) lgkmcnt(7)
	v_mul_f16_sdwa v146, v134, v112 dst_sel:DWORD dst_unused:UNUSED_PAD src0_sel:DWORD src1_sel:WORD_1
	v_mul_f16_sdwa v147, v88, v112 dst_sel:DWORD dst_unused:UNUSED_PAD src0_sel:DWORD src1_sel:WORD_1
	;; [unrolled: 1-line block ×3, first 2 shown]
	v_sub_f16_e32 v82, v71, v82
	v_fma_f16 v75, v75, v116, -v115
	v_fma_f16 v88, v88, v112, -v146
	v_fmac_f16_e32 v147, v134, v112
	v_fmac_f16_e32 v135, v140, v116
	v_fma_f16 v72, v72, 2.0, -v85
	v_fma_f16 v71, v71, 2.0, -v82
	s_waitcnt vmcnt(6) lgkmcnt(6)
	v_mul_f16_sdwa v115, v105, v117 dst_sel:DWORD dst_unused:UNUSED_PAD src0_sel:DWORD src1_sel:WORD_1
	v_mul_f16_sdwa v112, v87, v117 dst_sel:DWORD dst_unused:UNUSED_PAD src0_sel:DWORD src1_sel:WORD_1
	s_waitcnt vmcnt(5)
	v_mul_f16_sdwa v116, v84, v121 dst_sel:DWORD dst_unused:UNUSED_PAD src0_sel:DWORD src1_sel:WORD_1
	v_fma_f16 v87, v87, v117, -v115
	s_waitcnt lgkmcnt(5)
	v_mul_f16_sdwa v115, v137, v121 dst_sel:DWORD dst_unused:UNUSED_PAD src0_sel:DWORD src1_sel:WORD_1
	v_fmac_f16_e32 v112, v105, v117
	v_fmac_f16_e32 v116, v137, v121
	s_waitcnt vmcnt(4)
	v_mul_f16_sdwa v105, v83, v125 dst_sel:DWORD dst_unused:UNUSED_PAD src0_sel:DWORD src1_sel:WORD_1
	s_waitcnt lgkmcnt(4)
	v_mul_f16_sdwa v134, v111, v125 dst_sel:DWORD dst_unused:UNUSED_PAD src0_sel:DWORD src1_sel:WORD_1
	s_waitcnt vmcnt(2) lgkmcnt(2)
	v_mul_f16_sdwa v117, v139, v131 dst_sel:DWORD dst_unused:UNUSED_PAD src0_sel:DWORD src1_sel:WORD_1
	v_fma_f16 v84, v84, v121, -v115
	v_mul_f16_sdwa v115, v138, v129 dst_sel:DWORD dst_unused:UNUSED_PAD src0_sel:DWORD src1_sel:WORD_1
	v_mul_f16_sdwa v121, v79, v131 dst_sel:DWORD dst_unused:UNUSED_PAD src0_sel:DWORD src1_sel:WORD_1
	v_fmac_f16_e32 v105, v111, v125
	v_fma_f16 v79, v79, v131, -v117
	v_mov_b32_e32 v117, 0xf0
	v_mul_f16_sdwa v111, v80, v129 dst_sel:DWORD dst_unused:UNUSED_PAD src0_sel:DWORD src1_sel:WORD_1
	v_fma_f16 v80, v80, v129, -v115
	s_waitcnt vmcnt(1) lgkmcnt(1)
	v_mul_f16_sdwa v115, v142, v132 dst_sel:DWORD dst_unused:UNUSED_PAD src0_sel:DWORD src1_sel:WORD_1
	v_fma_f16 v83, v83, v125, -v134
	v_mul_u32_u24_sdwa v65, v65, v117 dst_sel:DWORD dst_unused:UNUSED_PAD src0_sel:WORD_0 src1_sel:DWORD
	v_mul_f16_sdwa v125, v77, v132 dst_sel:DWORD dst_unused:UNUSED_PAD src0_sel:DWORD src1_sel:WORD_1
	v_fmac_f16_e32 v111, v138, v129
	v_fma_f16 v115, v77, v132, -v115
	s_waitcnt vmcnt(0) lgkmcnt(0)
	v_mul_f16_sdwa v77, v145, v133 dst_sel:DWORD dst_unused:UNUSED_PAD src0_sel:DWORD src1_sel:WORD_1
	v_mul_f16_sdwa v129, v76, v133 dst_sel:DWORD dst_unused:UNUSED_PAD src0_sel:DWORD src1_sel:WORD_1
	v_add3_u32 v96, 0, v65, v96
	v_fma_f16 v65, v74, 2.0, -v89
	v_mul_u32_u24_sdwa v74, v90, v117 dst_sel:DWORD dst_unused:UNUSED_PAD src0_sel:WORD_0 src1_sel:DWORD
	v_fma_f16 v76, v76, v133, -v77
	v_lshlrev_b32_sdwa v77, v20, v97 dst_sel:DWORD dst_unused:UNUSED_PAD src0_sel:DWORD src1_sel:BYTE_0
	v_fmac_f16_e32 v121, v139, v131
	v_fmac_f16_e32 v125, v142, v132
	;; [unrolled: 1-line block ×3, first 2 shown]
	ds_read_u16 v131, v52
	ds_read_u16 v132, v12
	;; [unrolled: 1-line block ×14, first 2 shown]
	s_waitcnt lgkmcnt(0)
	s_barrier
	buffer_gl0_inv
	ds_write_b16 v96, v65
	ds_write_b16 v96, v89 offset:120
	v_sub_f16_e32 v65, v73, v86
	v_add3_u32 v97, 0, v74, v77
	v_mul_u32_u24_e32 v74, 0xf0, v92
	v_lshlrev_b32_sdwa v77, v20, v98 dst_sel:DWORD dst_unused:UNUSED_PAD src0_sel:DWORD src1_sel:WORD_0
	v_mul_u32_u24_e32 v86, 0xf0, v91
	v_lshlrev_b32_sdwa v89, v20, v99 dst_sel:DWORD dst_unused:UNUSED_PAD src0_sel:DWORD src1_sel:WORD_0
	v_fma_f16 v73, v73, 2.0, -v65
	v_lshrrev_b32_e32 v117, 22, v56
	v_add3_u32 v91, 0, v74, v77
	v_lshlrev_b32_sdwa v74, v20, v103 dst_sel:DWORD dst_unused:UNUSED_PAD src0_sel:DWORD src1_sel:WORD_0
	v_add3_u32 v92, 0, v86, v89
	ds_write_b16 v97, v73
	ds_write_b16 v97, v65 offset:120
	ds_write_b16 v91, v72
	ds_write_b16 v91, v85 offset:120
	ds_write_b16 v92, v71
	v_mul_u32_u24_e32 v65, 0xf0, v93
	v_lshlrev_b32_sdwa v71, v20, v100 dst_sel:DWORD dst_unused:UNUSED_PAD src0_sel:DWORD src1_sel:WORD_0
	v_sub_f16_e32 v72, v70, v81
	v_mul_u32_u24_e32 v73, 0xf0, v94
	v_sub_f16_e32 v77, v66, v78
	ds_write_b16 v92, v82 offset:120
	v_add3_u32 v93, 0, v65, v71
	v_fma_f16 v65, v70, 2.0, -v72
	v_mul_u32_u24_e32 v70, 0xf0, v101
	v_lshlrev_b32_sdwa v71, v20, v104 dst_sel:DWORD dst_unused:UNUSED_PAD src0_sel:DWORD src1_sel:WORD_0
	v_add3_u32 v94, 0, v73, v74
	v_fma_f16 v66, v66, 2.0, -v77
	ds_write_b16 v93, v65
	ds_write_b16 v93, v72 offset:120
	ds_write_b16 v94, v66
	ds_write_b16 v94, v77 offset:120
	v_add3_u32 v98, 0, v70, v71
	v_sub_f16_e32 v70, v69, v75
	v_mul_u32_u24_e32 v65, 0xf0, v95
	v_lshlrev_b32_sdwa v66, v20, v108 dst_sel:DWORD dst_unused:UNUSED_PAD src0_sel:DWORD src1_sel:WORD_0
	v_sub_f16_e32 v71, v68, v88
	v_mul_u32_u24_e32 v72, 0xf0, v107
	v_lshlrev_b32_sdwa v73, v20, v113 dst_sel:DWORD dst_unused:UNUSED_PAD src0_sel:DWORD src1_sel:WORD_0
	v_sub_f16_e32 v74, v67, v87
	v_fma_f16 v69, v69, 2.0, -v70
	v_add3_u32 v95, 0, v65, v66
	v_fma_f16 v65, v68, 2.0, -v71
	v_add3_u32 v99, 0, v72, v73
	v_fma_f16 v66, v67, 2.0, -v74
	ds_write_b16 v98, v69
	ds_write_b16 v98, v70 offset:120
	ds_write_b16 v95, v65
	ds_write_b16 v95, v71 offset:120
	ds_write_b16 v99, v66
	v_mul_u32_u24_e32 v65, 0xf0, v110
	v_lshlrev_b32_sdwa v66, v20, v118 dst_sel:DWORD dst_unused:UNUSED_PAD src0_sel:DWORD src1_sel:WORD_0
	v_sub_f16_e32 v67, v61, v84
	v_mul_u32_u24_e32 v68, 0xf0, v114
	v_lshlrev_b32_sdwa v69, v20, v119 dst_sel:DWORD dst_unused:UNUSED_PAD src0_sel:DWORD src1_sel:WORD_0
	v_sub_f16_e32 v70, v64, v83
	v_add3_u32 v100, 0, v65, v66
	v_fma_f16 v61, v61, 2.0, -v67
	v_mul_u32_u24_e32 v65, 0xf0, v120
	v_add3_u32 v101, 0, v68, v69
	v_sub_f16_e32 v68, v63, v80
	v_lshlrev_b32_sdwa v66, v20, v122 dst_sel:DWORD dst_unused:UNUSED_PAD src0_sel:DWORD src1_sel:WORD_0
	v_fma_f16 v64, v64, 2.0, -v70
	ds_write_b16 v99, v74 offset:120
	ds_write_b16 v100, v61
	ds_write_b16 v100, v67 offset:120
	ds_write_b16 v101, v64
	v_fma_f16 v61, v63, 2.0, -v68
	v_mul_u32_u24_e32 v63, 0xf0, v123
	v_lshlrev_b32_sdwa v64, v20, v126 dst_sel:DWORD dst_unused:UNUSED_PAD src0_sel:DWORD src1_sel:WORD_0
	v_add3_u32 v103, 0, v65, v66
	v_sub_f16_e32 v65, v5, v79
	ds_write_b16 v101, v70 offset:120
	ds_write_b16 v103, v61
	ds_write_b16 v103, v68 offset:120
	v_add3_u32 v104, 0, v63, v64
	v_mul_u32_u24_e32 v61, 0xf0, v124
	v_lshlrev_b32_sdwa v63, v20, v127 dst_sel:DWORD dst_unused:UNUSED_PAD src0_sel:DWORD src1_sel:WORD_0
	v_sub_f16_e32 v64, v2, v115
	v_mul_u32_u24_e32 v66, 0xf0, v128
	v_lshlrev_b32_sdwa v67, v20, v130 dst_sel:DWORD dst_unused:UNUSED_PAD src0_sel:DWORD src1_sel:WORD_0
	v_sub_f16_e32 v68, v3, v76
	v_fma_f16 v5, v5, 2.0, -v65
	v_add3_u32 v107, 0, v61, v63
	v_fma_f16 v2, v2, 2.0, -v64
	v_sub_f16_e32 v110, v141, v143
	v_add3_u32 v108, 0, v66, v67
	v_fma_f16 v3, v3, 2.0, -v68
	ds_write_b16 v104, v5
	ds_write_b16 v104, v65 offset:120
	ds_write_b16 v107, v2
	ds_write_b16 v107, v64 offset:120
	;; [unrolled: 2-line block ×3, first 2 shown]
	v_fma_f16 v2, v141, 2.0, -v110
	v_sub_f16_e32 v3, v149, v144
	v_sub_f16_e32 v102, v148, v102
	s_waitcnt lgkmcnt(0)
	s_barrier
	buffer_gl0_inv
	ds_read_u16 v70, v52
	ds_read_u16 v75, v51
	ds_read_u16 v90, v51 offset:3840
	ds_read_u16 v89, v51 offset:4096
	;; [unrolled: 1-line block ×7, first 2 shown]
	ds_read_u16 v69, v12
	ds_read_u16 v67, v13
	;; [unrolled: 1-line block ×13, first 2 shown]
	ds_read_u16 v87, v51 offset:5632
	ds_read_u16 v86, v51 offset:5888
	;; [unrolled: 1-line block ×8, first 2 shown]
	s_waitcnt lgkmcnt(0)
	s_barrier
	buffer_gl0_inv
	v_fma_f16 v113, v149, 2.0, -v3
	ds_write_b16 v96, v2
	ds_write_b16 v96, v110 offset:120
	v_sub_f16_e32 v2, v139, v106
	v_fma_f16 v96, v148, 2.0, -v102
	ds_write_b16 v97, v113
	ds_write_b16 v97, v3 offset:120
	v_sub_f16_e32 v3, v138, v109
	;; [unrolled: 4-line block ×3, first 2 shown]
	ds_write_b16 v92, v2 offset:120
	v_fma_f16 v96, v138, 2.0, -v3
	ds_write_b16 v92, v97
	v_sub_f16_e32 v97, v132, v135
	v_fma_f16 v2, v131, 2.0, -v91
	ds_write_b16 v93, v96
	ds_write_b16 v93, v3 offset:120
	v_sub_f16_e32 v92, v133, v147
	v_fma_f16 v3, v132, 2.0, -v97
	ds_write_b16 v94, v2
	ds_write_b16 v94, v91 offset:120
	v_sub_f16_e32 v2, v134, v112
	v_sub_f16_e32 v94, v140, v105
	;; [unrolled: 1-line block ×3, first 2 shown]
	ds_write_b16 v98, v3
	v_fma_f16 v3, v133, 2.0, -v92
	v_fma_f16 v93, v134, 2.0, -v2
	ds_write_b16 v98, v97 offset:120
	ds_write_b16 v95, v3
	ds_write_b16 v95, v92 offset:120
	ds_write_b16 v99, v93
	v_sub_f16_e32 v92, v142, v111
	v_fma_f16 v93, v140, 2.0, -v94
	v_fma_f16 v3, v137, 2.0, -v91
	ds_write_b16 v99, v2 offset:120
	ds_write_b16 v100, v3
	ds_write_b16 v100, v91 offset:120
	v_fma_f16 v2, v142, 2.0, -v92
	ds_write_b16 v101, v93
	v_sub_f16_e32 v93, v145, v121
	v_add_nc_u32_e32 v3, 0xffffff88, v0
	ds_write_b16 v101, v94 offset:120
	ds_write_b16 v103, v2
	v_sub_f16_e32 v94, v146, v125
	v_sub_f16_e32 v96, v150, v129
	v_fma_f16 v91, v145, 2.0, -v93
	v_cndmask_b32_e64 v2, v3, v0, s0
	v_mov_b32_e32 v3, 0
	v_fma_f16 v95, v146, 2.0, -v94
	ds_write_b16 v103, v92 offset:120
	ds_write_b16 v104, v91
	ds_write_b16 v104, v93 offset:120
	ds_write_b16 v107, v95
	ds_write_b16 v107, v94 offset:120
	v_lshlrev_b64 v[91:92], 2, v[2:3]
	v_fma_f16 v95, v150, 2.0, -v96
	ds_write_b16 v108, v96 offset:120
	v_lshrrev_b32_e32 v96, 22, v7
	v_lshrrev_b32_e32 v102, 22, v8
	;; [unrolled: 1-line block ×3, first 2 shown]
	v_add_co_u32 v93, s0, s12, v91
	v_add_co_ci_u32_e64 v94, s0, s13, v92, s0
	ds_write_b16 v108, v95
	v_mul_lo_u16 v92, 0x78, v4
	v_mul_lo_u16 v95, 0x78, v62
	v_lshrrev_b32_e32 v91, 22, v9
	v_mul_lo_u16 v97, 0x78, v96
	s_waitcnt lgkmcnt(0)
	s_barrier
	buffer_gl0_inv
	v_sub_nc_u16 v92, v26, v92
	v_sub_nc_u16 v95, v28, v95
	v_mul_lo_u16 v98, 0x78, v91
	global_load_dword v93, v[93:94], off offset:440
	v_sub_nc_u16 v97, v47, v97
	v_lshrrev_b32_e32 v94, 22, v6
	v_lshlrev_b32_sdwa v99, v21, v92 dst_sel:DWORD dst_unused:UNUSED_PAD src0_sel:DWORD src1_sel:BYTE_0
	v_lshlrev_b32_sdwa v100, v21, v95 dst_sel:DWORD dst_unused:UNUSED_PAD src0_sel:DWORD src1_sel:WORD_0
	v_sub_nc_u16 v98, v45, v98
	v_lshlrev_b32_sdwa v104, v21, v97 dst_sel:DWORD dst_unused:UNUSED_PAD src0_sel:DWORD src1_sel:WORD_0
	v_mul_lo_u16 v101, 0x78, v94
	s_clause 0x1
	global_load_dword v99, v99, s[12:13] offset:440
	global_load_dword v100, v100, s[12:13] offset:440
	v_lshlrev_b32_sdwa v105, v21, v98 dst_sel:DWORD dst_unused:UNUSED_PAD src0_sel:DWORD src1_sel:WORD_0
	global_load_dword v104, v104, s[12:13] offset:440
	v_sub_nc_u16 v101, v43, v101
	v_lshrrev_b32_e32 v108, 22, v11
	v_mul_lo_u16 v106, 0x78, v102
	global_load_dword v105, v105, s[12:13] offset:440
	v_lshrrev_b32_e32 v111, 22, v57
	v_lshlrev_b32_sdwa v109, v21, v101 dst_sel:DWORD dst_unused:UNUSED_PAD src0_sel:DWORD src1_sel:WORD_0
	v_mul_lo_u16 v110, 0x78, v108
	v_lshrrev_b32_e32 v112, 22, v58
	v_mul_lo_u16 v107, 0x78, v103
	v_sub_nc_u16 v106, v41, v106
	global_load_dword v109, v109, s[12:13] offset:440
	v_sub_nc_u16 v110, v31, v110
	v_mul_lo_u16 v115, 0x78, v111
	v_mul_lo_u16 v116, 0x78, v112
	v_lshrrev_b32_e32 v120, 22, v39
	v_sub_nc_u16 v107, v30, v107
	v_lshrrev_b32_e32 v121, 22, v59
	v_lshlrev_b32_sdwa v113, v21, v106 dst_sel:DWORD dst_unused:UNUSED_PAD src0_sel:DWORD src1_sel:WORD_0
	v_lshlrev_b32_sdwa v118, v21, v110 dst_sel:DWORD dst_unused:UNUSED_PAD src0_sel:DWORD src1_sel:WORD_0
	v_sub_nc_u16 v115, v34, v115
	v_sub_nc_u16 v116, v32, v116
	v_mul_lo_u16 v119, 0x78, v117
	v_mul_lo_u16 v124, 0x78, v120
	v_lshrrev_b32_e32 v126, 22, v60
	v_lshlrev_b32_sdwa v114, v21, v107 dst_sel:DWORD dst_unused:UNUSED_PAD src0_sel:DWORD src1_sel:WORD_0
	v_mul_lo_u16 v125, 0x78, v121
	s_clause 0x2
	global_load_dword v113, v113, s[12:13] offset:440
	global_load_dword v114, v114, s[12:13] offset:440
	;; [unrolled: 1-line block ×3, first 2 shown]
	v_lshlrev_b32_sdwa v122, v21, v115 dst_sel:DWORD dst_unused:UNUSED_PAD src0_sel:DWORD src1_sel:WORD_0
	v_lshlrev_b32_sdwa v123, v21, v116 dst_sel:DWORD dst_unused:UNUSED_PAD src0_sel:DWORD src1_sel:WORD_0
	v_sub_nc_u16 v119, v35, v119
	v_sub_nc_u16 v124, v36, v124
	v_mul_lo_u16 v128, 0x78, v126
	s_clause 0x1
	global_load_dword v122, v122, s[12:13] offset:440
	global_load_dword v123, v123, s[12:13] offset:440
	v_sub_nc_u16 v125, v38, v125
	v_lshlrev_b32_sdwa v127, v21, v119 dst_sel:DWORD dst_unused:UNUSED_PAD src0_sel:DWORD src1_sel:WORD_0
	v_lshlrev_b32_sdwa v129, v21, v124 dst_sel:DWORD dst_unused:UNUSED_PAD src0_sel:DWORD src1_sel:WORD_0
	v_sub_nc_u16 v128, v40, v128
	v_cmp_lt_u32_e64 s0, 0x77, v0
	v_lshlrev_b32_sdwa v130, v21, v125 dst_sel:DWORD dst_unused:UNUSED_PAD src0_sel:DWORD src1_sel:WORD_0
	s_clause 0x2
	global_load_dword v127, v127, s[12:13] offset:440
	global_load_dword v129, v129, s[12:13] offset:440
	;; [unrolled: 1-line block ×3, first 2 shown]
	v_lshlrev_b32_sdwa v131, v21, v128 dst_sel:DWORD dst_unused:UNUSED_PAD src0_sel:DWORD src1_sel:WORD_0
	v_lshlrev_b32_e32 v2, 1, v2
	v_mul_u32_u24_e32 v62, 0x1e0, v62
	v_lshrrev_b32_e32 v6, 23, v6
	v_lshrrev_b32_e32 v8, 23, v8
	global_load_dword v131, v131, s[12:13] offset:440
	ds_read_u16 v132, v51 offset:3840
	ds_read_u16 v133, v51 offset:4096
	;; [unrolled: 1-line block ×7, first 2 shown]
	ds_read_u16 v139, v51
	v_mul_lo_u16 v8, 0xf0, v8
	v_sub_nc_u16 v8, v41, v8
	v_and_b32_e32 v8, 0xffff, v8
	s_waitcnt vmcnt(14) lgkmcnt(7)
	v_mul_f16_sdwa v140, v132, v93 dst_sel:DWORD dst_unused:UNUSED_PAD src0_sel:DWORD src1_sel:WORD_1
	v_fma_f16 v140, v90, v93, -v140
	v_mul_f16_sdwa v90, v90, v93 dst_sel:DWORD dst_unused:UNUSED_PAD src0_sel:DWORD src1_sel:WORD_1
	s_waitcnt vmcnt(13) lgkmcnt(6)
	v_mul_f16_sdwa v141, v133, v99 dst_sel:DWORD dst_unused:UNUSED_PAD src0_sel:DWORD src1_sel:WORD_1
	v_mul_f16_sdwa v142, v89, v99 dst_sel:DWORD dst_unused:UNUSED_PAD src0_sel:DWORD src1_sel:WORD_1
	s_waitcnt vmcnt(12) lgkmcnt(5)
	v_mul_f16_sdwa v143, v134, v100 dst_sel:DWORD dst_unused:UNUSED_PAD src0_sel:DWORD src1_sel:WORD_1
	v_mul_f16_sdwa v144, v88, v100 dst_sel:DWORD dst_unused:UNUSED_PAD src0_sel:DWORD src1_sel:WORD_1
	v_fmac_f16_e32 v90, v132, v93
	s_waitcnt vmcnt(11) lgkmcnt(4)
	v_mul_f16_sdwa v93, v135, v104 dst_sel:DWORD dst_unused:UNUSED_PAD src0_sel:DWORD src1_sel:WORD_1
	v_fma_f16 v89, v89, v99, -v141
	v_fmac_f16_e32 v142, v133, v99
	v_fma_f16 v88, v88, v100, -v143
	v_fmac_f16_e32 v144, v134, v100
	v_mul_f16_sdwa v99, v85, v104 dst_sel:DWORD dst_unused:UNUSED_PAD src0_sel:DWORD src1_sel:WORD_1
	ds_read_u16 v100, v51 offset:5632
	ds_read_u16 v133, v51 offset:5888
	;; [unrolled: 1-line block ×3, first 2 shown]
	s_waitcnt vmcnt(10) lgkmcnt(6)
	v_mul_f16_sdwa v132, v136, v105 dst_sel:DWORD dst_unused:UNUSED_PAD src0_sel:DWORD src1_sel:WORD_1
	v_fma_f16 v85, v85, v104, -v93
	v_mul_f16_sdwa v93, v84, v105 dst_sel:DWORD dst_unused:UNUSED_PAD src0_sel:DWORD src1_sel:WORD_1
	v_fmac_f16_e32 v99, v135, v104
	s_waitcnt vmcnt(9) lgkmcnt(5)
	v_mul_f16_sdwa v104, v137, v109 dst_sel:DWORD dst_unused:UNUSED_PAD src0_sel:DWORD src1_sel:WORD_1
	v_fma_f16 v84, v84, v105, -v132
	v_mul_f16_sdwa v132, v81, v109 dst_sel:DWORD dst_unused:UNUSED_PAD src0_sel:DWORD src1_sel:WORD_1
	v_fmac_f16_e32 v93, v136, v105
	ds_read_u16 v105, v51 offset:6400
	v_fma_f16 v81, v81, v109, -v104
	v_sub_f16_e32 v88, v73, v88
	v_fmac_f16_e32 v132, v137, v109
	ds_read_u16 v135, v51 offset:6656
	ds_read_u16 v136, v51 offset:6912
	;; [unrolled: 1-line block ×4, first 2 shown]
	v_sub_f16_e32 v85, v72, v85
	s_waitcnt vmcnt(8) lgkmcnt(9)
	v_mul_f16_sdwa v104, v138, v113 dst_sel:DWORD dst_unused:UNUSED_PAD src0_sel:DWORD src1_sel:WORD_1
	v_mul_f16_sdwa v109, v77, v113 dst_sel:DWORD dst_unused:UNUSED_PAD src0_sel:DWORD src1_sel:WORD_1
	s_waitcnt vmcnt(7) lgkmcnt(7)
	v_mul_f16_sdwa v143, v100, v114 dst_sel:DWORD dst_unused:UNUSED_PAD src0_sel:DWORD src1_sel:WORD_1
	v_mul_f16_sdwa v145, v87, v114 dst_sel:DWORD dst_unused:UNUSED_PAD src0_sel:DWORD src1_sel:WORD_1
	s_waitcnt vmcnt(6) lgkmcnt(6)
	v_mul_f16_sdwa v146, v133, v118 dst_sel:DWORD dst_unused:UNUSED_PAD src0_sel:DWORD src1_sel:WORD_1
	v_fma_f16 v77, v77, v113, -v104
	v_fmac_f16_e32 v109, v138, v113
	v_fma_f16 v87, v87, v114, -v143
	v_fmac_f16_e32 v145, v100, v114
	v_fma_f16 v100, v86, v118, -v146
	v_mul_f16_sdwa v104, v86, v118 dst_sel:DWORD dst_unused:UNUSED_PAD src0_sel:DWORD src1_sel:WORD_1
	s_waitcnt vmcnt(5) lgkmcnt(5)
	v_mul_f16_sdwa v86, v134, v122 dst_sel:DWORD dst_unused:UNUSED_PAD src0_sel:DWORD src1_sel:WORD_1
	v_mul_f16_sdwa v113, v83, v122 dst_sel:DWORD dst_unused:UNUSED_PAD src0_sel:DWORD src1_sel:WORD_1
	s_waitcnt vmcnt(4) lgkmcnt(4)
	v_mul_f16_sdwa v114, v105, v123 dst_sel:DWORD dst_unused:UNUSED_PAD src0_sel:DWORD src1_sel:WORD_1
	v_mul_f16_sdwa v138, v82, v123 dst_sel:DWORD dst_unused:UNUSED_PAD src0_sel:DWORD src1_sel:WORD_1
	v_fmac_f16_e32 v104, v133, v118
	v_fma_f16 v83, v83, v122, -v86
	v_fmac_f16_e32 v113, v134, v122
	v_fma_f16 v82, v82, v123, -v114
	s_waitcnt vmcnt(3) lgkmcnt(3)
	v_mul_f16_sdwa v86, v135, v127 dst_sel:DWORD dst_unused:UNUSED_PAD src0_sel:DWORD src1_sel:WORD_1
	s_waitcnt vmcnt(2) lgkmcnt(2)
	v_mul_f16_sdwa v114, v136, v129 dst_sel:DWORD dst_unused:UNUSED_PAD src0_sel:DWORD src1_sel:WORD_1
	;; [unrolled: 2-line block ×3, first 2 shown]
	v_fmac_f16_e32 v138, v105, v123
	v_mul_f16_sdwa v105, v80, v127 dst_sel:DWORD dst_unused:UNUSED_PAD src0_sel:DWORD src1_sel:WORD_1
	v_mul_f16_sdwa v118, v79, v129 dst_sel:DWORD dst_unused:UNUSED_PAD src0_sel:DWORD src1_sel:WORD_1
	v_fma_f16 v80, v80, v127, -v86
	v_fma_f16 v79, v79, v129, -v114
	v_fma_f16 v86, v78, v130, -v122
	v_mul_f16_sdwa v114, v78, v130 dst_sel:DWORD dst_unused:UNUSED_PAD src0_sel:DWORD src1_sel:WORD_1
	s_waitcnt vmcnt(0) lgkmcnt(0)
	v_mul_f16_sdwa v78, v141, v131 dst_sel:DWORD dst_unused:UNUSED_PAD src0_sel:DWORD src1_sel:WORD_1
	v_fmac_f16_e32 v105, v135, v127
	v_cndmask_b32_e64 v123, 0, 0x1e0, s0
	v_sub_f16_e32 v127, v75, v140
	v_mul_f16_sdwa v122, v76, v131 dst_sel:DWORD dst_unused:UNUSED_PAD src0_sel:DWORD src1_sel:WORD_1
	v_fma_f16 v76, v76, v131, -v78
	v_mov_b32_e32 v78, 0x1e0
	v_add3_u32 v2, 0, v123, v2
	v_fma_f16 v75, v75, 2.0, -v127
	v_fmac_f16_e32 v118, v136, v129
	v_fmac_f16_e32 v114, v137, v130
	v_mul_u32_u24_sdwa v4, v4, v78 dst_sel:DWORD dst_unused:UNUSED_PAD src0_sel:WORD_0 src1_sel:DWORD
	v_lshlrev_b32_sdwa v78, v20, v92 dst_sel:DWORD dst_unused:UNUSED_PAD src0_sel:DWORD src1_sel:BYTE_0
	v_fmac_f16_e32 v122, v141, v131
	ds_read_u16 v123, v52
	ds_read_u16 v129, v12
	;; [unrolled: 1-line block ×14, first 2 shown]
	s_waitcnt lgkmcnt(0)
	s_barrier
	buffer_gl0_inv
	ds_write_b16 v2, v75
	ds_write_b16 v2, v127 offset:240
	v_sub_f16_e32 v75, v74, v89
	v_add3_u32 v4, 0, v4, v78
	v_lshlrev_b32_sdwa v78, v20, v95 dst_sel:DWORD dst_unused:UNUSED_PAD src0_sel:DWORD src1_sel:WORD_0
	v_mul_u32_u24_e32 v89, 0x1e0, v96
	v_lshlrev_b32_sdwa v92, v20, v97 dst_sel:DWORD dst_unused:UNUSED_PAD src0_sel:DWORD src1_sel:WORD_0
	v_fma_f16 v74, v74, 2.0, -v75
	v_fma_f16 v72, v72, 2.0, -v85
	v_add3_u32 v95, 0, v62, v78
	v_fma_f16 v62, v73, 2.0, -v88
	v_add3_u32 v92, 0, v89, v92
	ds_write_b16 v4, v74
	ds_write_b16 v4, v75 offset:240
	ds_write_b16 v95, v62
	ds_write_b16 v95, v88 offset:240
	ds_write_b16 v92, v72
	v_mul_u32_u24_e32 v62, 0x1e0, v91
	v_lshlrev_b32_sdwa v72, v20, v98 dst_sel:DWORD dst_unused:UNUSED_PAD src0_sel:DWORD src1_sel:WORD_0
	v_sub_f16_e32 v73, v71, v84
	v_mul_u32_u24_e32 v74, 0x1e0, v94
	v_lshlrev_b32_sdwa v75, v20, v101 dst_sel:DWORD dst_unused:UNUSED_PAD src0_sel:DWORD src1_sel:WORD_0
	v_sub_f16_e32 v78, v70, v81
	v_add3_u32 v91, 0, v62, v72
	v_fma_f16 v62, v71, 2.0, -v73
	v_mul_u32_u24_e32 v71, 0x1e0, v102
	v_lshlrev_b32_sdwa v72, v20, v106 dst_sel:DWORD dst_unused:UNUSED_PAD src0_sel:DWORD src1_sel:WORD_0
	v_add3_u32 v94, 0, v74, v75
	v_fma_f16 v70, v70, 2.0, -v78
	ds_write_b16 v92, v85 offset:240
	ds_write_b16 v91, v62
	ds_write_b16 v91, v73 offset:240
	ds_write_b16 v94, v70
	ds_write_b16 v94, v78 offset:240
	v_add3_u32 v96, 0, v71, v72
	v_sub_f16_e32 v71, v69, v77
	v_mul_u32_u24_e32 v62, 0x1e0, v103
	v_lshlrev_b32_sdwa v70, v20, v107 dst_sel:DWORD dst_unused:UNUSED_PAD src0_sel:DWORD src1_sel:WORD_0
	v_sub_f16_e32 v72, v67, v87
	v_mul_u32_u24_e32 v73, 0x1e0, v108
	v_lshlrev_b32_sdwa v74, v20, v110 dst_sel:DWORD dst_unused:UNUSED_PAD src0_sel:DWORD src1_sel:WORD_0
	v_sub_f16_e32 v75, v68, v100
	v_fma_f16 v69, v69, 2.0, -v71
	v_add3_u32 v97, 0, v62, v70
	v_fma_f16 v62, v67, 2.0, -v72
	v_add3_u32 v98, 0, v73, v74
	v_fma_f16 v67, v68, 2.0, -v75
	ds_write_b16 v96, v69
	ds_write_b16 v96, v71 offset:240
	ds_write_b16 v97, v62
	ds_write_b16 v97, v72 offset:240
	ds_write_b16 v98, v67
	v_mul_u32_u24_e32 v62, 0x1e0, v111
	v_lshlrev_b32_sdwa v67, v20, v115 dst_sel:DWORD dst_unused:UNUSED_PAD src0_sel:DWORD src1_sel:WORD_0
	v_sub_f16_e32 v68, v65, v83
	v_mul_u32_u24_e32 v69, 0x1e0, v112
	v_lshlrev_b32_sdwa v70, v20, v116 dst_sel:DWORD dst_unused:UNUSED_PAD src0_sel:DWORD src1_sel:WORD_0
	v_sub_f16_e32 v71, v66, v82
	v_add3_u32 v100, 0, v62, v67
	v_fma_f16 v62, v65, 2.0, -v68
	v_lshlrev_b32_sdwa v67, v20, v119 dst_sel:DWORD dst_unused:UNUSED_PAD src0_sel:DWORD src1_sel:WORD_0
	v_add3_u32 v101, 0, v69, v70
	v_fma_f16 v65, v66, 2.0, -v71
	v_mul_u32_u24_e32 v66, 0x1e0, v117
	v_sub_f16_e32 v69, v64, v80
	ds_write_b16 v98, v75 offset:240
	ds_write_b16 v100, v62
	ds_write_b16 v100, v68 offset:240
	ds_write_b16 v101, v65
	v_lshlrev_b32_sdwa v65, v20, v124 dst_sel:DWORD dst_unused:UNUSED_PAD src0_sel:DWORD src1_sel:WORD_0
	v_add3_u32 v102, 0, v66, v67
	v_fma_f16 v62, v64, 2.0, -v69
	v_mul_u32_u24_e32 v64, 0x1e0, v120
	v_sub_f16_e32 v66, v63, v79
	ds_write_b16 v101, v71 offset:240
	ds_write_b16 v102, v62
	ds_write_b16 v102, v69 offset:240
	v_mul_u32_u24_e32 v67, 0x1e0, v126
	v_add3_u32 v103, 0, v64, v65
	v_fma_f16 v62, v63, 2.0, -v66
	v_mul_u32_u24_e32 v63, 0x1e0, v121
	v_lshlrev_b32_sdwa v64, v20, v125 dst_sel:DWORD dst_unused:UNUSED_PAD src0_sel:DWORD src1_sel:WORD_0
	v_sub_f16_e32 v65, v5, v86
	v_lshlrev_b32_sdwa v68, v20, v128 dst_sel:DWORD dst_unused:UNUSED_PAD src0_sel:DWORD src1_sel:WORD_0
	v_sub_f16_e32 v69, v61, v76
	v_sub_f16_e32 v108, v139, v90
	v_add3_u32 v106, 0, v63, v64
	v_fma_f16 v5, v5, 2.0, -v65
	v_sub_f16_e32 v110, v146, v142
	v_add3_u32 v107, 0, v67, v68
	v_fma_f16 v61, v61, 2.0, -v69
	ds_write_b16 v103, v62
	ds_write_b16 v103, v66 offset:240
	ds_write_b16 v106, v5
	ds_write_b16 v106, v65 offset:240
	;; [unrolled: 2-line block ×3, first 2 shown]
	v_fma_f16 v5, v139, 2.0, -v108
	v_sub_f16_e32 v111, v143, v144
	v_fma_f16 v112, v146, 2.0, -v110
	s_waitcnt lgkmcnt(0)
	s_barrier
	buffer_gl0_inv
	ds_read_u16 v70, v52
	ds_read_u16 v75, v51
	ds_read_u16 v90, v51 offset:3840
	ds_read_u16 v89, v51 offset:4096
	;; [unrolled: 1-line block ×7, first 2 shown]
	ds_read_u16 v69, v12
	ds_read_u16 v68, v13
	;; [unrolled: 1-line block ×13, first 2 shown]
	ds_read_u16 v88, v51 offset:5632
	ds_read_u16 v85, v51 offset:5888
	;; [unrolled: 1-line block ×8, first 2 shown]
	s_waitcnt lgkmcnt(0)
	s_barrier
	buffer_gl0_inv
	ds_write_b16 v2, v5
	ds_write_b16 v2, v108 offset:240
	v_sub_f16_e32 v2, v135, v99
	v_fma_f16 v5, v143, 2.0, -v111
	ds_write_b16 v4, v112
	ds_write_b16 v4, v110 offset:240
	v_sub_f16_e32 v4, v134, v93
	ds_write_b16 v95, v5
	ds_write_b16 v95, v111 offset:240
	v_fma_f16 v93, v135, 2.0, -v2
	v_sub_f16_e32 v5, v123, v132
	v_fma_f16 v95, v134, 2.0, -v4
	ds_write_b16 v92, v93
	ds_write_b16 v92, v2 offset:240
	v_sub_f16_e32 v2, v129, v109
	v_fma_f16 v92, v123, 2.0, -v5
	ds_write_b16 v91, v95
	ds_write_b16 v91, v4 offset:240
	v_sub_f16_e32 v4, v130, v145
	ds_write_b16 v94, v92
	ds_write_b16 v94, v5 offset:240
	v_fma_f16 v91, v129, 2.0, -v2
	v_sub_f16_e32 v5, v131, v104
	v_fma_f16 v92, v130, 2.0, -v4
	ds_write_b16 v96, v91
	ds_write_b16 v96, v2 offset:240
	v_sub_f16_e32 v2, v133, v113
	v_fma_f16 v91, v131, 2.0, -v5
	ds_write_b16 v97, v92
	v_sub_f16_e32 v92, v136, v138
	ds_write_b16 v97, v4 offset:240
	v_fma_f16 v4, v133, 2.0, -v2
	ds_write_b16 v98, v91
	v_sub_f16_e32 v91, v137, v105
	v_fma_f16 v93, v136, 2.0, -v92
	ds_write_b16 v98, v5 offset:240
	ds_write_b16 v100, v4
	ds_write_b16 v100, v2 offset:240
	v_sub_f16_e32 v4, v140, v118
	v_cmp_gt_u32_e64 s0, 0xf0, v26
	v_fma_f16 v2, v137, 2.0, -v91
	ds_write_b16 v101, v93
	v_sub_f16_e32 v93, v141, v114
	ds_write_b16 v101, v92 offset:240
	ds_write_b16 v102, v2
	v_fma_f16 v2, v140, 2.0, -v4
	v_add_nc_u32_e32 v92, 0xffffff90, v0
	ds_write_b16 v102, v91 offset:240
	v_sub_f16_e32 v91, v147, v122
	v_fma_f16 v5, v141, 2.0, -v93
	ds_write_b16 v103, v2
	ds_write_b16 v103, v4 offset:240
	v_cndmask_b32_e64 v2, v92, v26, s0
	v_lshrrev_b32_e32 v98, 23, v11
	v_fma_f16 v94, v147, 2.0, -v91
	ds_write_b16 v106, v5
	v_lshlrev_b64 v[4:5], 2, v[0:1]
	ds_write_b16 v106, v93 offset:240
	ds_write_b16 v107, v94
	ds_write_b16 v107, v91 offset:240
	v_lshlrev_b64 v[91:92], 2, v[2:3]
	v_lshrrev_b32_e32 v1, 23, v7
	v_lshrrev_b32_e32 v7, 23, v9
	v_add_co_u32 v4, s0, s12, v4
	v_add_co_ci_u32_e64 v5, s0, s13, v5, s0
	v_add_co_u32 v91, s0, s12, v91
	v_add_co_ci_u32_e64 v92, s0, s13, v92, s0
	v_mul_lo_u16 v9, 0xf0, v1
	v_mul_lo_u16 v7, 0xf0, v7
	s_waitcnt lgkmcnt(0)
	s_barrier
	buffer_gl0_inv
	v_sub_nc_u16 v9, v47, v9
	v_sub_nc_u16 v7, v45, v7
	s_clause 0x2
	global_load_dword v91, v[91:92], off offset:920
	global_load_dword v92, v[4:5], off offset:920
	;; [unrolled: 1-line block ×3, first 2 shown]
	v_lshlrev_b32_sdwa v94, v21, v9 dst_sel:DWORD dst_unused:UNUSED_PAD src0_sel:DWORD src1_sel:WORD_0
	v_and_b32_e32 v7, 0xffff, v7
	v_mul_lo_u16 v93, 0xf0, v6
	v_lshrrev_b32_e32 v103, 23, v58
	v_lshrrev_b32_e32 v97, 23, v10
	global_load_dword v94, v94, s[12:13] offset:920
	v_lshlrev_b32_e32 v96, 2, v7
	v_sub_nc_u16 v93, v43, v93
	v_mul_lo_u16 v98, 0xf0, v98
	v_lshrrev_b32_e32 v102, 23, v57
	v_mul_lo_u16 v103, 0xf0, v103
	global_load_dword v96, v96, s[12:13] offset:920
	v_lshlrev_b32_sdwa v99, v21, v93 dst_sel:DWORD dst_unused:UNUSED_PAD src0_sel:DWORD src1_sel:WORD_0
	v_lshrrev_b32_e32 v106, 23, v39
	v_mul_lo_u16 v100, 0xf0, v97
	v_sub_nc_u16 v98, v31, v98
	v_mul_lo_u16 v104, 0xf0, v102
	global_load_dword v99, v99, s[12:13] offset:920
	v_lshlrev_b32_e32 v101, 2, v8
	v_sub_nc_u16 v103, v32, v103
	v_lshrrev_b32_e32 v109, 23, v56
	v_mul_lo_u16 v106, 0xf0, v106
	v_sub_nc_u16 v100, v30, v100
	global_load_dword v101, v101, s[12:13] offset:920
	v_lshrrev_b32_e32 v111, 23, v60
	v_and_b32_e32 v98, 0xffff, v98
	v_sub_nc_u16 v104, v34, v104
	v_and_b32_e32 v103, 0xffff, v103
	v_mul_lo_u16 v110, 0xf0, v109
	v_sub_nc_u16 v106, v36, v106
	v_lshrrev_b32_e32 v112, 23, v59
	v_lshlrev_b32_sdwa v105, v21, v100 dst_sel:DWORD dst_unused:UNUSED_PAD src0_sel:DWORD src1_sel:WORD_0
	v_mul_lo_u16 v111, 0xf0, v111
	v_lshlrev_b32_e32 v107, 2, v98
	v_lshlrev_b32_sdwa v108, v21, v104 dst_sel:DWORD dst_unused:UNUSED_PAD src0_sel:DWORD src1_sel:WORD_0
	v_lshlrev_b32_e32 v113, 2, v103
	v_sub_nc_u16 v110, v35, v110
	v_and_b32_e32 v106, 0xffff, v106
	v_mul_lo_u16 v114, 0xf0, v112
	s_clause 0x2
	global_load_dword v105, v105, s[12:13] offset:920
	global_load_dword v107, v107, s[12:13] offset:920
	;; [unrolled: 1-line block ×3, first 2 shown]
	v_sub_nc_u16 v111, v40, v111
	global_load_dword v113, v113, s[12:13] offset:920
	v_lshlrev_b32_sdwa v115, v21, v110 dst_sel:DWORD dst_unused:UNUSED_PAD src0_sel:DWORD src1_sel:WORD_0
	v_lshlrev_b32_e32 v116, 2, v106
	v_sub_nc_u16 v114, v38, v114
	v_and_b32_e32 v111, 0xffff, v111
	v_cmp_lt_u32_e64 s0, 0xef, v26
	s_clause 0x1
	global_load_dword v115, v115, s[12:13] offset:920
	global_load_dword v116, v116, s[12:13] offset:920
	v_lshlrev_b32_sdwa v117, v21, v114 dst_sel:DWORD dst_unused:UNUSED_PAD src0_sel:DWORD src1_sel:WORD_0
	v_lshlrev_b32_e32 v118, 2, v111
	s_clause 0x1
	global_load_dword v117, v117, s[12:13] offset:920
	global_load_dword v118, v118, s[12:13] offset:920
	ds_read_u16 v119, v51 offset:3840
	ds_read_u16 v120, v51 offset:4096
	;; [unrolled: 1-line block ×7, first 2 shown]
	ds_read_u16 v126, v51
	v_cndmask_b32_e64 v134, 0, 0x3c0, s0
	v_lshlrev_b32_e32 v2, 1, v2
	v_lshlrev_b32_sdwa v9, v20, v9 dst_sel:DWORD dst_unused:UNUSED_PAD src0_sel:DWORD src1_sel:WORD_0
	v_mul_u32_u24_e32 v6, 0x3c0, v6
	v_lshl_add_u32 v7, v7, 1, 0
	v_lshl_add_u32 v8, v8, 1, 0
	v_add3_u32 v2, 0, v134, v2
	v_lshrrev_b32_e32 v11, 24, v11
	v_lshrrev_b32_e32 v57, 24, v57
	;; [unrolled: 1-line block ×6, first 2 shown]
	v_mul_lo_u16 v57, 0x1e0, v57
	v_mul_lo_u16 v58, 0x1e0, v58
	;; [unrolled: 1-line block ×3, first 2 shown]
	v_lshrrev_b32_e32 v60, 24, v60
	v_mul_lo_u16 v59, 0x1e0, v59
	v_sub_nc_u16 v57, v34, v57
	v_sub_nc_u16 v58, v32, v58
	;; [unrolled: 1-line block ×3, first 2 shown]
	v_mul_lo_u16 v60, 0x1e0, v60
	v_sub_nc_u16 v59, v38, v59
	v_and_b32_e32 v57, 0xffff, v57
	v_and_b32_e32 v58, 0xffff, v58
	;; [unrolled: 1-line block ×3, first 2 shown]
	v_sub_nc_u16 v60, v40, v60
	v_and_b32_e32 v59, 0xffff, v59
	v_lshlrev_b64 v[45:46], 2, v[45:46]
	v_lshlrev_b64 v[43:44], 2, v[43:44]
	v_and_b32_e32 v60, 0xffff, v60
	s_waitcnt vmcnt(14) lgkmcnt(6)
	v_mul_f16_sdwa v129, v120, v91 dst_sel:DWORD dst_unused:UNUSED_PAD src0_sel:DWORD src1_sel:WORD_1
	s_waitcnt vmcnt(13)
	v_mul_f16_sdwa v127, v119, v92 dst_sel:DWORD dst_unused:UNUSED_PAD src0_sel:DWORD src1_sel:WORD_1
	v_mul_f16_sdwa v128, v90, v92 dst_sel:DWORD dst_unused:UNUSED_PAD src0_sel:DWORD src1_sel:WORD_1
	v_fma_f16 v90, v90, v92, -v127
	v_mul_f16_sdwa v127, v89, v91 dst_sel:DWORD dst_unused:UNUSED_PAD src0_sel:DWORD src1_sel:WORD_1
	v_fmac_f16_e32 v128, v119, v92
	v_fma_f16 v89, v89, v91, -v129
	s_waitcnt vmcnt(12) lgkmcnt(5)
	v_mul_f16_sdwa v92, v121, v95 dst_sel:DWORD dst_unused:UNUSED_PAD src0_sel:DWORD src1_sel:WORD_1
	v_mul_f16_sdwa v119, v87, v95 dst_sel:DWORD dst_unused:UNUSED_PAD src0_sel:DWORD src1_sel:WORD_1
	v_fmac_f16_e32 v127, v120, v91
	s_waitcnt vmcnt(11) lgkmcnt(4)
	v_mul_f16_sdwa v91, v122, v94 dst_sel:DWORD dst_unused:UNUSED_PAD src0_sel:DWORD src1_sel:WORD_1
	v_mul_f16_sdwa v120, v86, v94 dst_sel:DWORD dst_unused:UNUSED_PAD src0_sel:DWORD src1_sel:WORD_1
	v_fma_f16 v87, v87, v95, -v92
	v_fmac_f16_e32 v119, v121, v95
	ds_read_u16 v92, v51 offset:5632
	ds_read_u16 v121, v51 offset:5888
	v_fma_f16 v86, v86, v94, -v91
	s_waitcnt vmcnt(10) lgkmcnt(5)
	v_mul_f16_sdwa v91, v123, v96 dst_sel:DWORD dst_unused:UNUSED_PAD src0_sel:DWORD src1_sel:WORD_1
	v_mul_f16_sdwa v95, v83, v96 dst_sel:DWORD dst_unused:UNUSED_PAD src0_sel:DWORD src1_sel:WORD_1
	v_fmac_f16_e32 v120, v122, v94
	ds_read_u16 v122, v51 offset:6400
	s_waitcnt vmcnt(9) lgkmcnt(5)
	v_mul_f16_sdwa v94, v124, v99 dst_sel:DWORD dst_unused:UNUSED_PAD src0_sel:DWORD src1_sel:WORD_1
	v_fma_f16 v83, v83, v96, -v91
	ds_read_u16 v91, v51 offset:6144
	v_fmac_f16_e32 v95, v123, v96
	v_mul_f16_sdwa v96, v81, v99 dst_sel:DWORD dst_unused:UNUSED_PAD src0_sel:DWORD src1_sel:WORD_1
	v_fma_f16 v81, v81, v99, -v94
	s_waitcnt vmcnt(8) lgkmcnt(5)
	v_mul_f16_sdwa v94, v125, v101 dst_sel:DWORD dst_unused:UNUSED_PAD src0_sel:DWORD src1_sel:WORD_1
	v_mul_f16_sdwa v123, v78, v101 dst_sel:DWORD dst_unused:UNUSED_PAD src0_sel:DWORD src1_sel:WORD_1
	v_sub_f16_e32 v90, v75, v90
	v_fmac_f16_e32 v96, v124, v99
	ds_read_u16 v99, v51 offset:6656
	ds_read_u16 v124, v51 offset:6912
	;; [unrolled: 1-line block ×4, first 2 shown]
	v_fma_f16 v78, v78, v101, -v94
	v_fmac_f16_e32 v123, v125, v101
	v_fma_f16 v75, v75, 2.0, -v90
	v_sub_f16_e32 v89, v74, v89
	v_sub_f16_e32 v86, v72, v86
	s_waitcnt vmcnt(7) lgkmcnt(7)
	v_mul_f16_sdwa v131, v92, v105 dst_sel:DWORD dst_unused:UNUSED_PAD src0_sel:DWORD src1_sel:WORD_1
	v_mul_f16_sdwa v132, v88, v105 dst_sel:DWORD dst_unused:UNUSED_PAD src0_sel:DWORD src1_sel:WORD_1
	s_waitcnt vmcnt(6) lgkmcnt(6)
	v_mul_f16_sdwa v94, v121, v107 dst_sel:DWORD dst_unused:UNUSED_PAD src0_sel:DWORD src1_sel:WORD_1
	v_fma_f16 v74, v74, 2.0, -v89
	v_fma_f16 v72, v72, 2.0, -v86
	v_fma_f16 v88, v88, v105, -v131
	v_fmac_f16_e32 v132, v92, v105
	v_mul_f16_sdwa v92, v85, v107 dst_sel:DWORD dst_unused:UNUSED_PAD src0_sel:DWORD src1_sel:WORD_1
	s_waitcnt vmcnt(5) lgkmcnt(4)
	v_mul_f16_sdwa v101, v91, v108 dst_sel:DWORD dst_unused:UNUSED_PAD src0_sel:DWORD src1_sel:WORD_1
	v_fma_f16 v85, v85, v107, -v94
	v_mul_f16_sdwa v94, v84, v108 dst_sel:DWORD dst_unused:UNUSED_PAD src0_sel:DWORD src1_sel:WORD_1
	s_waitcnt vmcnt(4)
	v_mul_f16_sdwa v105, v122, v113 dst_sel:DWORD dst_unused:UNUSED_PAD src0_sel:DWORD src1_sel:WORD_1
	v_fmac_f16_e32 v92, v121, v107
	v_fma_f16 v84, v84, v108, -v101
	v_mul_f16_sdwa v101, v82, v113 dst_sel:DWORD dst_unused:UNUSED_PAD src0_sel:DWORD src1_sel:WORD_1
	v_fmac_f16_e32 v94, v91, v108
	v_fma_f16 v82, v82, v113, -v105
	s_waitcnt vmcnt(3) lgkmcnt(3)
	v_mul_f16_sdwa v91, v99, v115 dst_sel:DWORD dst_unused:UNUSED_PAD src0_sel:DWORD src1_sel:WORD_1
	v_mul_f16_sdwa v105, v80, v115 dst_sel:DWORD dst_unused:UNUSED_PAD src0_sel:DWORD src1_sel:WORD_1
	s_waitcnt vmcnt(2) lgkmcnt(2)
	v_mul_f16_sdwa v107, v124, v116 dst_sel:DWORD dst_unused:UNUSED_PAD src0_sel:DWORD src1_sel:WORD_1
	v_mul_f16_sdwa v108, v79, v116 dst_sel:DWORD dst_unused:UNUSED_PAD src0_sel:DWORD src1_sel:WORD_1
	v_fmac_f16_e32 v101, v122, v113
	v_fma_f16 v80, v80, v115, -v91
	v_fmac_f16_e32 v105, v99, v115
	v_fma_f16 v79, v79, v116, -v107
	s_waitcnt vmcnt(1) lgkmcnt(1)
	v_mul_f16_sdwa v91, v129, v117 dst_sel:DWORD dst_unused:UNUSED_PAD src0_sel:DWORD src1_sel:WORD_1
	v_mul_f16_sdwa v99, v77, v117 dst_sel:DWORD dst_unused:UNUSED_PAD src0_sel:DWORD src1_sel:WORD_1
	s_waitcnt vmcnt(0) lgkmcnt(0)
	v_mul_f16_sdwa v107, v130, v118 dst_sel:DWORD dst_unused:UNUSED_PAD src0_sel:DWORD src1_sel:WORD_1
	v_mul_f16_sdwa v113, v76, v118 dst_sel:DWORD dst_unused:UNUSED_PAD src0_sel:DWORD src1_sel:WORD_1
	v_fmac_f16_e32 v108, v124, v116
	v_fma_f16 v77, v77, v117, -v91
	v_fmac_f16_e32 v99, v129, v117
	v_fma_f16 v76, v76, v118, -v107
	v_fmac_f16_e32 v113, v130, v118
	ds_read_u16 v91, v37
	ds_read_u16 v107, v33
	;; [unrolled: 1-line block ×14, first 2 shown]
	s_waitcnt lgkmcnt(0)
	s_barrier
	buffer_gl0_inv
	ds_write_b16 v51, v75
	ds_write_b16 v51, v90 offset:480
	v_sub_f16_e32 v75, v73, v87
	v_mul_u32_u24_e32 v87, 0x3c0, v1
	v_lshl_add_u32 v1, v0, 1, 0
	ds_write_b16 v2, v74
	v_sub_f16_e32 v74, v71, v83
	v_fma_f16 v73, v73, 2.0, -v75
	v_add3_u32 v9, 0, v87, v9
	ds_write_b16 v2, v89 offset:480
	ds_write_b16 v1, v73 offset:992
	;; [unrolled: 1-line block ×3, first 2 shown]
	ds_write_b16 v9, v72
	v_lshlrev_b32_sdwa v72, v20, v93 dst_sel:DWORD dst_unused:UNUSED_PAD src0_sel:DWORD src1_sel:WORD_0
	v_sub_f16_e32 v73, v70, v81
	v_fma_f16 v71, v71, 2.0, -v74
	ds_write_b16 v9, v86 offset:480
	ds_write_b16 v7, v71 offset:1920
	;; [unrolled: 1-line block ×3, first 2 shown]
	v_add3_u32 v6, 0, v6, v72
	v_fma_f16 v70, v70, 2.0, -v73
	v_sub_f16_e32 v71, v69, v78
	v_mul_u32_u24_e32 v72, 0x3c0, v97
	v_lshlrev_b32_sdwa v74, v20, v100 dst_sel:DWORD dst_unused:UNUSED_PAD src0_sel:DWORD src1_sel:WORD_0
	v_sub_f16_e32 v75, v68, v88
	ds_write_b16 v6, v70
	v_sub_f16_e32 v70, v67, v85
	v_fma_f16 v69, v69, 2.0, -v71
	v_add3_u32 v93, 0, v72, v74
	v_fma_f16 v68, v68, 2.0, -v75
	v_lshl_add_u32 v97, v98, 1, 0
	v_fma_f16 v67, v67, 2.0, -v70
	ds_write_b16 v6, v73 offset:480
	ds_write_b16 v8, v69 offset:2880
	;; [unrolled: 1-line block ×3, first 2 shown]
	ds_write_b16 v93, v68
	v_mul_u32_u24_e32 v68, 0x3c0, v102
	v_lshlrev_b32_sdwa v69, v20, v104 dst_sel:DWORD dst_unused:UNUSED_PAD src0_sel:DWORD src1_sel:WORD_0
	v_sub_f16_e32 v71, v66, v84
	ds_write_b16 v93, v75 offset:480
	ds_write_b16 v97, v67 offset:3840
	;; [unrolled: 1-line block ×3, first 2 shown]
	v_sub_f16_e32 v67, v65, v82
	v_sub_f16_e32 v70, v64, v80
	v_add3_u32 v98, 0, v68, v69
	v_mul_u32_u24_e32 v68, 0x3c0, v109
	v_lshlrev_b32_sdwa v69, v20, v110 dst_sel:DWORD dst_unused:UNUSED_PAD src0_sel:DWORD src1_sel:WORD_0
	v_fma_f16 v66, v66, 2.0, -v71
	v_fma_f16 v65, v65, 2.0, -v67
	v_lshl_add_u32 v100, v103, 1, 0
	v_fma_f16 v64, v64, 2.0, -v70
	v_add3_u32 v102, 0, v68, v69
	ds_write_b16 v98, v66
	ds_write_b16 v98, v71 offset:480
	ds_write_b16 v100, v65 offset:4800
	;; [unrolled: 1-line block ×3, first 2 shown]
	ds_write_b16 v102, v64
	v_mul_u32_u24_e32 v64, 0x3c0, v112
	v_lshlrev_b32_sdwa v65, v20, v114 dst_sel:DWORD dst_unused:UNUSED_PAD src0_sel:DWORD src1_sel:WORD_0
	v_sub_f16_e32 v67, v61, v77
	v_sub_f16_e32 v109, v126, v128
	;; [unrolled: 1-line block ×4, first 2 shown]
	v_lshl_add_u32 v103, v106, 1, 0
	v_add3_u32 v104, 0, v64, v65
	v_fma_f16 v61, v61, 2.0, -v67
	v_lshl_add_u32 v106, v111, 1, 0
	v_fma_f16 v110, v126, 2.0, -v109
	v_sub_f16_e32 v111, v91, v127
	v_fma_f16 v63, v63, 2.0, -v66
	v_fma_f16 v62, v62, 2.0, -v68
	ds_write_b16 v102, v70 offset:480
	ds_write_b16 v103, v63 offset:5760
	;; [unrolled: 1-line block ×3, first 2 shown]
	ds_write_b16 v104, v61
	ds_write_b16 v104, v67 offset:480
	ds_write_b16 v106, v62 offset:6720
	;; [unrolled: 1-line block ×3, first 2 shown]
	s_waitcnt lgkmcnt(0)
	s_barrier
	buffer_gl0_inv
	ds_read_u16 v70, v52
	ds_read_u16 v75, v51
	ds_read_u16 v90, v51 offset:3840
	ds_read_u16 v89, v51 offset:4096
	;; [unrolled: 1-line block ×7, first 2 shown]
	ds_read_u16 v69, v12
	ds_read_u16 v68, v13
	;; [unrolled: 1-line block ×13, first 2 shown]
	ds_read_u16 v88, v51 offset:5632
	ds_read_u16 v85, v51 offset:5888
	;; [unrolled: 1-line block ×8, first 2 shown]
	s_waitcnt lgkmcnt(0)
	s_barrier
	buffer_gl0_inv
	v_sub_f16_e32 v112, v107, v119
	v_fma_f16 v91, v91, 2.0, -v111
	ds_write_b16 v51, v110
	ds_write_b16 v51, v109 offset:480
	v_sub_f16_e32 v109, v124, v120
	ds_write_b16 v2, v91
	ds_write_b16 v2, v111 offset:480
	v_fma_f16 v107, v107, 2.0, -v112
	v_sub_f16_e32 v2, v122, v95
	v_fma_f16 v91, v124, 2.0, -v109
	ds_write_b16 v1, v107 offset:992
	ds_write_b16 v1, v112 offset:1472
	v_sub_f16_e32 v95, v115, v96
	v_fma_f16 v96, v122, 2.0, -v2
	ds_write_b16 v9, v91
	v_sub_f16_e32 v91, v116, v123
	ds_write_b16 v9, v109 offset:480
	v_fma_f16 v9, v115, 2.0, -v95
	ds_write_b16 v7, v96 offset:1920
	ds_write_b16 v7, v2 offset:2400
	v_sub_f16_e32 v7, v117, v132
	v_fma_f16 v2, v116, 2.0, -v91
	ds_write_b16 v6, v9
	ds_write_b16 v6, v95 offset:480
	v_sub_f16_e32 v6, v118, v92
	ds_write_b16 v8, v91 offset:3360
	ds_write_b16 v8, v2 offset:2880
	v_fma_f16 v2, v117, 2.0, -v7
	v_sub_f16_e32 v8, v121, v94
	v_sub_f16_e32 v91, v125, v101
	v_fma_f16 v9, v118, 2.0, -v6
	ds_write_b16 v93, v2
	ds_write_b16 v93, v7 offset:480
	v_fma_f16 v2, v121, 2.0, -v8
	v_fma_f16 v7, v125, 2.0, -v91
	ds_write_b16 v97, v6 offset:4320
	v_sub_f16_e32 v6, v129, v105
	ds_write_b16 v97, v9 offset:3840
	ds_write_b16 v98, v2
	ds_write_b16 v98, v8 offset:480
	ds_write_b16 v100, v7 offset:4800
	v_sub_f16_e32 v2, v130, v108
	v_sub_f16_e32 v8, v131, v99
	v_fma_f16 v7, v129, 2.0, -v6
	ds_write_b16 v100, v91 offset:5280
	v_sub_f16_e32 v9, v133, v113
	v_fma_f16 v91, v130, 2.0, -v2
	ds_write_b16 v102, v6 offset:480
	ds_write_b16 v102, v7
	v_fma_f16 v7, v131, 2.0, -v8
	ds_write_b16 v103, v91 offset:5760
	ds_write_b16 v103, v2 offset:6240
	ds_write_b16 v104, v7
	ds_write_b16 v104, v8 offset:480
	v_lshlrev_b64 v[6:7], 2, v[26:27]
	v_fma_f16 v92, v133, 2.0, -v9
	ds_write_b16 v106, v92 offset:6720
	ds_write_b16 v106, v9 offset:7200
	v_add_co_u32 v6, s0, s12, v6
	v_lshlrev_b64 v[8:9], 2, v[28:29]
	v_add_co_ci_u32_e64 v7, s0, s13, v7, s0
	v_add_nc_u32_e32 v2, 0xffffffa0, v0
	v_cmp_gt_u32_e64 s0, 0x1e0, v47
	s_waitcnt lgkmcnt(0)
	s_barrier
	buffer_gl0_inv
	global_load_dword v27, v[4:5], off offset:1880
	v_cndmask_b32_e64 v2, v2, v47, s0
	v_add_co_u32 v8, s0, s12, v8
	v_add_co_ci_u32_e64 v9, s0, s13, v9, s0
	v_lshlrev_b64 v[91:92], 2, v[2:3]
	s_clause 0x1
	global_load_dword v29, v[6:7], off offset:1880
	global_load_dword v93, v[8:9], off offset:1880
	v_lshrrev_b32_e32 v95, 24, v10
	v_mul_lo_u16 v99, 0x1e0, v56
	v_lshlrev_b32_e32 v102, 2, v57
	v_add_co_u32 v91, s0, s12, v91
	v_add_co_ci_u32_e64 v92, s0, s13, v92, s0
	v_add_co_u32 v10, s0, 0x800, v4
	s_clause 0x1
	global_load_dword v94, v[4:5], off offset:2008
	global_load_dword v91, v[91:92], off offset:1880
	v_mul_lo_u16 v92, 0x1e0, v11
	v_add_co_ci_u32_e64 v11, s0, 0, v5, s0
	v_mul_lo_u16 v96, 0x1e0, v95
	v_sub_nc_u16 v99, v35, v99
	v_sub_nc_u16 v92, v31, v92
	s_clause 0x1
	global_load_dword v97, v[10:11], off offset:472
	global_load_dword v98, v[10:11], off offset:984
	v_sub_nc_u16 v96, v30, v96
	v_lshlrev_b32_e32 v103, 2, v58
	v_and_b32_e32 v92, 0xffff, v92
	global_load_dword v102, v102, s[12:13] offset:1880
	v_lshlrev_b32_e32 v104, 2, v39
	v_lshlrev_b32_sdwa v100, v21, v96 dst_sel:DWORD dst_unused:UNUSED_PAD src0_sel:DWORD src1_sel:WORD_0
	global_load_dword v103, v103, s[12:13] offset:1880
	v_lshlrev_b32_e32 v101, 2, v92
	v_lshlrev_b32_sdwa v21, v21, v99 dst_sel:DWORD dst_unused:UNUSED_PAD src0_sel:DWORD src1_sel:WORD_0
	s_clause 0x1
	global_load_dword v104, v104, s[12:13] offset:1880
	global_load_dword v100, v100, s[12:13] offset:1880
	v_lshlrev_b32_e32 v105, 2, v59
	s_clause 0x1
	global_load_dword v101, v101, s[12:13] offset:1880
	global_load_dword v21, v21, s[12:13] offset:1880
	v_lshlrev_b32_e32 v106, 2, v60
	s_clause 0x1
	global_load_dword v105, v105, s[12:13] offset:1880
	global_load_dword v106, v106, s[12:13] offset:1880
	ds_read_u16 v107, v51 offset:3840
	ds_read_u16 v108, v51 offset:4096
	;; [unrolled: 1-line block ×7, first 2 shown]
	ds_read_u16 v114, v51
	ds_read_u16 v119, v51 offset:6400
	v_cmp_lt_u32_e64 s0, 0x1df, v47
	v_lshlrev_b32_e32 v2, 1, v2
	v_mul_u32_u24_e32 v56, 0x780, v56
	s_waitcnt vmcnt(14) lgkmcnt(8)
	v_mul_f16_sdwa v115, v107, v27 dst_sel:DWORD dst_unused:UNUSED_PAD src0_sel:DWORD src1_sel:WORD_1
	v_mul_f16_sdwa v116, v90, v27 dst_sel:DWORD dst_unused:UNUSED_PAD src0_sel:DWORD src1_sel:WORD_1
	v_fma_f16 v90, v90, v27, -v115
	v_fmac_f16_e32 v116, v107, v27
	s_waitcnt vmcnt(13) lgkmcnt(7)
	v_mul_f16_sdwa v117, v108, v29 dst_sel:DWORD dst_unused:UNUSED_PAD src0_sel:DWORD src1_sel:WORD_1
	v_mul_f16_sdwa v118, v89, v29 dst_sel:DWORD dst_unused:UNUSED_PAD src0_sel:DWORD src1_sel:WORD_1
	ds_read_u16 v115, v51 offset:6144
	v_sub_f16_e32 v90, v75, v90
	v_fma_f16 v27, v89, v29, -v117
	s_waitcnt vmcnt(12) lgkmcnt(7)
	v_mul_f16_sdwa v89, v109, v93 dst_sel:DWORD dst_unused:UNUSED_PAD src0_sel:DWORD src1_sel:WORD_1
	v_fmac_f16_e32 v118, v108, v29
	v_mul_f16_sdwa v29, v87, v93 dst_sel:DWORD dst_unused:UNUSED_PAD src0_sel:DWORD src1_sel:WORD_1
	v_fma_f16 v75, v75, 2.0, -v90
	v_sub_f16_e32 v27, v74, v27
	v_fma_f16 v87, v87, v93, -v89
	ds_read_u16 v89, v51 offset:5632
	s_waitcnt vmcnt(10) lgkmcnt(7)
	v_mul_f16_sdwa v107, v110, v91 dst_sel:DWORD dst_unused:UNUSED_PAD src0_sel:DWORD src1_sel:WORD_1
	v_mul_f16_sdwa v108, v86, v91 dst_sel:DWORD dst_unused:UNUSED_PAD src0_sel:DWORD src1_sel:WORD_1
	v_fmac_f16_e32 v29, v109, v93
	ds_read_u16 v109, v51 offset:5888
	v_mul_f16_sdwa v93, v82, v94 dst_sel:DWORD dst_unused:UNUSED_PAD src0_sel:DWORD src1_sel:WORD_1
	v_fma_f16 v86, v86, v91, -v107
	v_fmac_f16_e32 v108, v110, v91
	s_waitcnt lgkmcnt(7)
	v_mul_f16_sdwa v91, v111, v94 dst_sel:DWORD dst_unused:UNUSED_PAD src0_sel:DWORD src1_sel:WORD_1
	s_waitcnt vmcnt(9) lgkmcnt(6)
	v_mul_f16_sdwa v107, v112, v97 dst_sel:DWORD dst_unused:UNUSED_PAD src0_sel:DWORD src1_sel:WORD_1
	v_mul_f16_sdwa v110, v81, v97 dst_sel:DWORD dst_unused:UNUSED_PAD src0_sel:DWORD src1_sel:WORD_1
	v_fmac_f16_e32 v93, v111, v94
	s_waitcnt vmcnt(8) lgkmcnt(5)
	v_mul_f16_sdwa v117, v113, v98 dst_sel:DWORD dst_unused:UNUSED_PAD src0_sel:DWORD src1_sel:WORD_1
	v_fma_f16 v82, v82, v94, -v91
	v_fma_f16 v81, v81, v97, -v107
	ds_read_u16 v94, v51 offset:6656
	ds_read_u16 v107, v51 offset:6912
	;; [unrolled: 1-line block ×4, first 2 shown]
	v_mul_f16_sdwa v91, v78, v98 dst_sel:DWORD dst_unused:UNUSED_PAD src0_sel:DWORD src1_sel:WORD_1
	v_fmac_f16_e32 v110, v112, v97
	s_waitcnt vmcnt(4)
	v_mul_f16_sdwa v122, v88, v100 dst_sel:DWORD dst_unused:UNUSED_PAD src0_sel:DWORD src1_sel:WORD_1
	v_fma_f16 v78, v78, v98, -v117
	s_waitcnt lgkmcnt(5)
	v_mul_f16_sdwa v121, v89, v100 dst_sel:DWORD dst_unused:UNUSED_PAD src0_sel:DWORD src1_sel:WORD_1
	v_fmac_f16_e32 v91, v113, v98
	s_waitcnt vmcnt(3)
	v_mul_f16_sdwa v97, v85, v101 dst_sel:DWORD dst_unused:UNUSED_PAD src0_sel:DWORD src1_sel:WORD_1
	v_fmac_f16_e32 v122, v89, v100
	s_waitcnt lgkmcnt(4)
	v_mul_f16_sdwa v89, v109, v101 dst_sel:DWORD dst_unused:UNUSED_PAD src0_sel:DWORD src1_sel:WORD_1
	v_fma_f16 v88, v88, v100, -v121
	v_mul_f16_sdwa v98, v115, v102 dst_sel:DWORD dst_unused:UNUSED_PAD src0_sel:DWORD src1_sel:WORD_1
	v_mul_f16_sdwa v100, v84, v102 dst_sel:DWORD dst_unused:UNUSED_PAD src0_sel:DWORD src1_sel:WORD_1
	;; [unrolled: 1-line block ×3, first 2 shown]
	v_fma_f16 v85, v85, v101, -v89
	v_fmac_f16_e32 v97, v109, v101
	v_fma_f16 v84, v84, v102, -v98
	v_fmac_f16_e32 v100, v115, v102
	v_fma_f16 v89, v83, v103, -v112
	v_mul_f16_sdwa v98, v83, v103 dst_sel:DWORD dst_unused:UNUSED_PAD src0_sel:DWORD src1_sel:WORD_1
	s_waitcnt vmcnt(2) lgkmcnt(3)
	v_mul_f16_sdwa v83, v94, v21 dst_sel:DWORD dst_unused:UNUSED_PAD src0_sel:DWORD src1_sel:WORD_1
	v_mul_f16_sdwa v101, v80, v21 dst_sel:DWORD dst_unused:UNUSED_PAD src0_sel:DWORD src1_sel:WORD_1
	s_waitcnt lgkmcnt(2)
	v_mul_f16_sdwa v102, v107, v104 dst_sel:DWORD dst_unused:UNUSED_PAD src0_sel:DWORD src1_sel:WORD_1
	v_mul_f16_sdwa v109, v79, v104 dst_sel:DWORD dst_unused:UNUSED_PAD src0_sel:DWORD src1_sel:WORD_1
	v_fma_f16 v74, v74, 2.0, -v27
	v_fma_f16 v80, v80, v21, -v83
	v_fmac_f16_e32 v101, v94, v21
	v_fma_f16 v21, v79, v104, -v102
	s_waitcnt vmcnt(1) lgkmcnt(1)
	v_mul_f16_sdwa v79, v111, v105 dst_sel:DWORD dst_unused:UNUSED_PAD src0_sel:DWORD src1_sel:WORD_1
	v_mul_f16_sdwa v94, v77, v105 dst_sel:DWORD dst_unused:UNUSED_PAD src0_sel:DWORD src1_sel:WORD_1
	s_waitcnt vmcnt(0) lgkmcnt(0)
	v_mul_f16_sdwa v83, v120, v106 dst_sel:DWORD dst_unused:UNUSED_PAD src0_sel:DWORD src1_sel:WORD_1
	v_mul_f16_sdwa v102, v76, v106 dst_sel:DWORD dst_unused:UNUSED_PAD src0_sel:DWORD src1_sel:WORD_1
	v_fmac_f16_e32 v98, v119, v103
	v_fmac_f16_e32 v109, v107, v104
	v_fma_f16 v77, v77, v105, -v79
	v_fmac_f16_e32 v94, v111, v105
	v_fma_f16 v76, v76, v106, -v83
	v_fmac_f16_e32 v102, v120, v106
	ds_read_u16 v103, v37
	ds_read_u16 v104, v33
	;; [unrolled: 1-line block ×14, first 2 shown]
	s_waitcnt lgkmcnt(0)
	s_barrier
	buffer_gl0_inv
	ds_write_b16 v51, v75
	ds_write_b16 v51, v90 offset:960
	v_sub_f16_e32 v75, v73, v87
	ds_write_b16 v37, v74
	v_cndmask_b32_e64 v74, 0, 0x780, s0
	v_sub_f16_e32 v79, v72, v86
	v_sub_f16_e32 v82, v71, v82
	v_fma_f16 v73, v73, 2.0, -v75
	ds_write_b16 v37, v27 offset:960
	v_add3_u32 v2, 0, v74, v2
	v_fma_f16 v27, v72, 2.0, -v79
	v_sub_f16_e32 v72, v70, v81
	v_fma_f16 v71, v71, 2.0, -v82
	ds_write_b16 v33, v73
	ds_write_b16 v33, v75 offset:960
	ds_write_b16 v2, v27
	ds_write_b16 v2, v79 offset:960
	ds_write_b16 v1, v71 offset:1984
	;; [unrolled: 1-line block ×3, first 2 shown]
	v_fma_f16 v27, v70, 2.0, -v72
	v_sub_f16_e32 v70, v69, v78
	v_mul_u32_u24_e32 v71, 0x780, v95
	v_lshlrev_b32_sdwa v73, v20, v96 dst_sel:DWORD dst_unused:UNUSED_PAD src0_sel:DWORD src1_sel:WORD_0
	v_sub_f16_e32 v74, v68, v88
	ds_write_b16 v1, v27 offset:2240
	v_fma_f16 v27, v69, 2.0, -v70
	v_sub_f16_e32 v69, v66, v85
	v_add3_u32 v86, 0, v71, v73
	v_lshl_add_u32 v87, v57, 1, 0
	v_sub_f16_e32 v57, v65, v89
	ds_write_b16 v1, v27 offset:2496
	v_sub_f16_e32 v27, v67, v84
	v_lshl_add_u32 v88, v58, 1, 0
	v_lshlrev_b32_sdwa v20, v20, v99 dst_sel:DWORD dst_unused:UNUSED_PAD src0_sel:DWORD src1_sel:WORD_0
	v_sub_f16_e32 v58, v63, v80
	v_fma_f16 v68, v68, 2.0, -v74
	v_fma_f16 v66, v66, 2.0, -v69
	v_lshl_add_u32 v85, v92, 1, 0
	v_fma_f16 v67, v67, 2.0, -v27
	v_sub_f16_e32 v21, v64, v21
	ds_write_b16 v1, v72 offset:3200
	ds_write_b16 v1, v70 offset:3456
	ds_write_b16 v86, v68
	ds_write_b16 v86, v74 offset:960
	ds_write_b16 v85, v66 offset:3840
	ds_write_b16 v85, v69 offset:4800
	ds_write_b16 v87, v67 offset:3840
	v_fma_f16 v65, v65, 2.0, -v57
	ds_write_b16 v87, v27 offset:4800
	v_add3_u32 v20, 0, v56, v20
	v_fma_f16 v27, v63, 2.0, -v58
	v_lshl_add_u32 v89, v39, 1, 0
	v_sub_f16_e32 v39, v61, v77
	v_fma_f16 v56, v64, 2.0, -v21
	ds_write_b16 v88, v65 offset:3840
	ds_write_b16 v88, v57 offset:4800
	ds_write_b16 v20, v27
	v_sub_f16_e32 v27, v62, v76
	ds_write_b16 v20, v58 offset:960
	ds_write_b16 v89, v56 offset:5760
	v_fma_f16 v56, v61, 2.0, -v39
	v_lshl_add_u32 v90, v59, 1, 0
	ds_write_b16 v89, v21 offset:6720
	v_sub_f16_e32 v21, v114, v116
	v_fma_f16 v57, v62, 2.0, -v27
	v_lshl_add_u32 v92, v60, 1, 0
	ds_write_b16 v90, v56 offset:5760
	ds_write_b16 v90, v39 offset:6720
	;; [unrolled: 1-line block ×4, first 2 shown]
	v_fma_f16 v27, v114, 2.0, -v21
	v_sub_f16_e32 v95, v103, v118
	v_sub_f16_e32 v29, v104, v29
	s_waitcnt lgkmcnt(0)
	s_barrier
	buffer_gl0_inv
	ds_read_u16 v63, v52
	ds_read_u16 v69, v51
	ds_read_u16 v84, v51 offset:3840
	ds_read_u16 v83, v51 offset:4096
	;; [unrolled: 1-line block ×7, first 2 shown]
	ds_read_u16 v64, v12
	ds_read_u16 v62, v13
	ds_read_u16 v61, v14
	ds_read_u16 v59, v15
	ds_read_u16 v65, v55
	ds_read_u16 v66, v54
	ds_read_u16 v60, v53
	ds_read_u16 v58, v16
	ds_read_u16 v57, v17
	ds_read_u16 v39, v18
	ds_read_u16 v67, v33
	ds_read_u16 v68, v37
	ds_read_u16 v56, v19
	ds_read_u16 v82, v51 offset:5632
	ds_read_u16 v79, v51 offset:5888
	;; [unrolled: 1-line block ×8, first 2 shown]
	s_waitcnt lgkmcnt(0)
	s_barrier
	buffer_gl0_inv
	v_fma_f16 v96, v103, 2.0, -v95
	ds_write_b16 v51, v27
	ds_write_b16 v51, v21 offset:960
	v_sub_f16_e32 v21, v115, v108
	v_fma_f16 v27, v104, 2.0, -v29
	v_sub_f16_e32 v93, v113, v93
	ds_write_b16 v37, v96
	ds_write_b16 v37, v95 offset:960
	ds_write_b16 v33, v27
	ds_write_b16 v33, v29 offset:960
	v_fma_f16 v95, v115, 2.0, -v21
	v_sub_f16_e32 v27, v105, v110
	v_fma_f16 v29, v113, 2.0, -v93
	v_sub_f16_e32 v91, v106, v91
	ds_write_b16 v2, v21 offset:960
	ds_write_b16 v2, v95
	v_fma_f16 v2, v105, 2.0, -v27
	ds_write_b16 v1, v29 offset:1984
	ds_write_b16 v1, v93 offset:2944
	v_fma_f16 v21, v106, 2.0, -v91
	v_sub_f16_e32 v29, v107, v122
	ds_write_b16 v1, v2 offset:2240
	ds_write_b16 v1, v27 offset:3200
	v_sub_f16_e32 v2, v111, v97
	ds_write_b16 v1, v21 offset:2496
	v_fma_f16 v21, v107, 2.0, -v29
	v_sub_f16_e32 v27, v112, v100
	v_sub_f16_e32 v93, v117, v98
	ds_write_b16 v1, v91 offset:3456
	v_fma_f16 v91, v111, 2.0, -v2
	ds_write_b16 v86, v21
	ds_write_b16 v86, v29 offset:960
	v_fma_f16 v21, v112, 2.0, -v27
	v_fma_f16 v29, v117, 2.0, -v93
	ds_write_b16 v85, v2 offset:4800
	v_sub_f16_e32 v2, v119, v101
	ds_write_b16 v85, v91 offset:3840
	ds_write_b16 v87, v21 offset:3840
	;; [unrolled: 1-line block ×4, first 2 shown]
	v_sub_f16_e32 v21, v120, v109
	v_sub_f16_e32 v29, v121, v94
	v_fma_f16 v27, v119, 2.0, -v2
	v_sub_f16_e32 v85, v123, v102
	ds_write_b16 v88, v93 offset:4800
	v_fma_f16 v86, v120, 2.0, -v21
	ds_write_b16 v20, v2 offset:960
	ds_write_b16 v20, v27
	v_fma_f16 v27, v121, 2.0, -v29
	v_fma_f16 v2, v123, 2.0, -v85
	ds_write_b16 v89, v86 offset:5760
	ds_write_b16 v89, v21 offset:6720
	;; [unrolled: 1-line block ×6, first 2 shown]
	v_lshlrev_b64 v[20:21], 2, v[47:48]
	v_add_co_u32 v85, s0, 0x800, v8
	v_add_co_ci_u32_e64 v86, s0, 0, v9, s0
	v_lshlrev_b64 v[89:90], 2, v[41:42]
	v_add_co_u32 v20, s0, s12, v20
	v_add_co_ci_u32_e64 v21, s0, s13, v21, s0
	v_add_co_u32 v27, s0, s12, v45
	v_add_co_ci_u32_e64 v29, s0, s13, v46, s0
	v_add_co_u32 v46, s0, 0x800, v20
	v_add_co_ci_u32_e64 v47, s0, 0, v21, s0
	v_add_co_u32 v87, s0, 0x800, v27
	v_add_co_ci_u32_e64 v88, s0, 0, v29, s0
	v_add_co_u32 v42, s0, s12, v43
	v_add_co_ci_u32_e64 v43, s0, s13, v44, s0
	v_add_co_u32 v44, s0, s12, v89
	v_add_co_ci_u32_e64 v45, s0, s13, v90, s0
	v_add_co_u32 v89, s0, 0x800, v42
	v_add_co_ci_u32_e64 v90, s0, 0, v43, s0
	v_add_co_u32 v91, s0, 0x800, v6
	v_add_co_ci_u32_e64 v92, s0, 0, v7, s0
	v_add_nc_u32_e32 v2, 0xfffffc40, v30
	v_cmp_gt_u32_e64 s0, 0x3c0, v30
	s_waitcnt lgkmcnt(0)
	s_barrier
	buffer_gl0_inv
	v_cndmask_b32_e64 v2, v2, v30, s0
	v_add_co_u32 v93, s0, 0x800, v44
	v_add_co_ci_u32_e64 v94, s0, 0, v45, s0
	s_clause 0x5
	global_load_dword v41, v[10:11], off offset:1752
	global_load_dword v48, v[46:47], off offset:1752
	;; [unrolled: 1-line block ×6, first 2 shown]
	v_lshlrev_b64 v[46:47], 2, v[2:3]
	s_clause 0x1
	global_load_dword v92, v[85:86], off offset:1752
	global_load_dword v93, v[10:11], off offset:2008
	v_add_nc_u32_e32 v87, 0x2c0, v0
	v_mov_b32_e32 v88, v3
	v_lshlrev_b32_e32 v2, 1, v2
	v_add_co_u32 v46, s0, s12, v46
	v_add_co_ci_u32_e64 v47, s0, s13, v47, s0
	v_add_co_u32 v10, s0, 0x800, v46
	v_add_co_ci_u32_e64 v11, s0, 0, v47, s0
	v_add_nc_u32_e32 v46, 0x240, v0
	v_mov_b32_e32 v47, v3
	v_add_co_u32 v85, s0, 0x1000, v4
	v_add_co_ci_u32_e64 v86, s0, 0, v5, s0
	v_lshlrev_b64 v[46:47], 2, v[46:47]
	s_clause 0x3
	global_load_dword v94, v[10:11], off offset:1752
	global_load_dword v96, v[85:86], off offset:472
	;; [unrolled: 1-line block ×4, first 2 shown]
	v_lshlrev_b64 v[10:11], 2, v[87:88]
	v_add_co_u32 v46, s0, s12, v46
	v_add_co_ci_u32_e64 v47, s0, s13, v47, s0
	v_add_co_u32 v85, s0, s12, v10
	v_add_co_ci_u32_e64 v86, s0, s13, v11, s0
	v_add_nc_u32_e32 v10, 0x340, v0
	v_mov_b32_e32 v11, v3
	v_add_co_u32 v46, s0, 0x800, v46
	v_add_co_ci_u32_e64 v47, s0, 0, v47, s0
	v_lshlrev_b64 v[10:11], 2, v[10:11]
	v_add_co_u32 v85, s0, 0x800, v85
	v_add_co_ci_u32_e64 v86, s0, 0, v86, s0
	global_load_dword v46, v[46:47], off offset:1752
	v_add_co_u32 v10, s0, s12, v10
	v_add_co_ci_u32_e64 v11, s0, s13, v11, s0
	v_add_co_u32 v10, s0, 0x800, v10
	v_add_co_ci_u32_e64 v11, s0, 0, v11, s0
	s_clause 0x1
	global_load_dword v47, v[85:86], off offset:1752
	global_load_dword v10, v[10:11], off offset:1752
	ds_read_u16 v11, v51 offset:3840
	ds_read_u16 v85, v51 offset:4096
	;; [unrolled: 1-line block ×7, first 2 shown]
	ds_read_u16 v101, v51
	ds_read_u16 v106, v51 offset:6400
	v_cmp_lt_u32_e64 s0, 0x3bf, v30
	s_waitcnt vmcnt(14) lgkmcnt(8)
	v_mul_f16_sdwa v102, v11, v41 dst_sel:DWORD dst_unused:UNUSED_PAD src0_sel:DWORD src1_sel:WORD_1
	v_mul_f16_sdwa v103, v84, v41 dst_sel:DWORD dst_unused:UNUSED_PAD src0_sel:DWORD src1_sel:WORD_1
	s_waitcnt vmcnt(9) lgkmcnt(7)
	v_mul_f16_sdwa v104, v85, v91 dst_sel:DWORD dst_unused:UNUSED_PAD src0_sel:DWORD src1_sel:WORD_1
	v_mul_f16_sdwa v105, v83, v91 dst_sel:DWORD dst_unused:UNUSED_PAD src0_sel:DWORD src1_sel:WORD_1
	v_fma_f16 v84, v84, v41, -v102
	v_fmac_f16_e32 v103, v11, v41
	s_waitcnt vmcnt(8) lgkmcnt(6)
	v_mul_f16_sdwa v41, v86, v92 dst_sel:DWORD dst_unused:UNUSED_PAD src0_sel:DWORD src1_sel:WORD_1
	v_fma_f16 v11, v83, v91, -v104
	v_fmac_f16_e32 v105, v85, v91
	v_mul_f16_sdwa v83, v81, v92 dst_sel:DWORD dst_unused:UNUSED_PAD src0_sel:DWORD src1_sel:WORD_1
	v_mul_f16_sdwa v91, v80, v48 dst_sel:DWORD dst_unused:UNUSED_PAD src0_sel:DWORD src1_sel:WORD_1
	v_fma_f16 v41, v81, v92, -v41
	ds_read_u16 v81, v51 offset:5632
	s_waitcnt lgkmcnt(6)
	v_mul_f16_sdwa v85, v87, v48 dst_sel:DWORD dst_unused:UNUSED_PAD src0_sel:DWORD src1_sel:WORD_1
	ds_read_u16 v102, v51 offset:6144
	v_fmac_f16_e32 v91, v87, v48
	ds_read_u16 v87, v51 offset:5888
	v_fmac_f16_e32 v83, v86, v92
	v_fma_f16 v80, v80, v48, -v85
	s_waitcnt lgkmcnt(7)
	v_mul_f16_sdwa v48, v88, v95 dst_sel:DWORD dst_unused:UNUSED_PAD src0_sel:DWORD src1_sel:WORD_1
	v_mul_f16_sdwa v85, v76, v95 dst_sel:DWORD dst_unused:UNUSED_PAD src0_sel:DWORD src1_sel:WORD_1
	s_waitcnt lgkmcnt(6)
	v_mul_f16_sdwa v86, v99, v89 dst_sel:DWORD dst_unused:UNUSED_PAD src0_sel:DWORD src1_sel:WORD_1
	v_mul_f16_sdwa v92, v75, v89 dst_sel:DWORD dst_unused:UNUSED_PAD src0_sel:DWORD src1_sel:WORD_1
	s_waitcnt lgkmcnt(5)
	v_mul_f16_sdwa v104, v100, v90 dst_sel:DWORD dst_unused:UNUSED_PAD src0_sel:DWORD src1_sel:WORD_1
	v_fma_f16 v48, v76, v95, -v48
	v_fmac_f16_e32 v85, v88, v95
	ds_read_u16 v76, v51 offset:6656
	ds_read_u16 v88, v51 offset:6912
	;; [unrolled: 1-line block ×4, first 2 shown]
	v_fma_f16 v75, v75, v89, -v86
	v_mul_f16_sdwa v86, v72, v90 dst_sel:DWORD dst_unused:UNUSED_PAD src0_sel:DWORD src1_sel:WORD_1
	s_waitcnt vmcnt(6)
	v_mul_f16_sdwa v109, v82, v94 dst_sel:DWORD dst_unused:UNUSED_PAD src0_sel:DWORD src1_sel:WORD_1
	v_fmac_f16_e32 v92, v99, v89
	v_fma_f16 v72, v72, v90, -v104
	s_waitcnt lgkmcnt(6)
	v_mul_f16_sdwa v108, v81, v94 dst_sel:DWORD dst_unused:UNUSED_PAD src0_sel:DWORD src1_sel:WORD_1
	v_fmac_f16_e32 v86, v100, v90
	v_fmac_f16_e32 v109, v81, v94
	v_mul_f16_sdwa v89, v79, v93 dst_sel:DWORD dst_unused:UNUSED_PAD src0_sel:DWORD src1_sel:WORD_1
	s_waitcnt lgkmcnt(4)
	v_mul_f16_sdwa v81, v87, v93 dst_sel:DWORD dst_unused:UNUSED_PAD src0_sel:DWORD src1_sel:WORD_1
	v_fma_f16 v82, v82, v94, -v108
	s_waitcnt vmcnt(5)
	v_mul_f16_sdwa v90, v102, v96 dst_sel:DWORD dst_unused:UNUSED_PAD src0_sel:DWORD src1_sel:WORD_1
	v_mul_f16_sdwa v94, v78, v96 dst_sel:DWORD dst_unused:UNUSED_PAD src0_sel:DWORD src1_sel:WORD_1
	s_waitcnt vmcnt(4)
	v_mul_f16_sdwa v99, v106, v97 dst_sel:DWORD dst_unused:UNUSED_PAD src0_sel:DWORD src1_sel:WORD_1
	v_fma_f16 v79, v79, v93, -v81
	v_fmac_f16_e32 v89, v87, v93
	v_fma_f16 v78, v78, v96, -v90
	v_fmac_f16_e32 v94, v102, v96
	v_fma_f16 v81, v77, v97, -v99
	v_mul_f16_sdwa v87, v77, v97 dst_sel:DWORD dst_unused:UNUSED_PAD src0_sel:DWORD src1_sel:WORD_1
	s_waitcnt vmcnt(3) lgkmcnt(3)
	v_mul_f16_sdwa v77, v76, v98 dst_sel:DWORD dst_unused:UNUSED_PAD src0_sel:DWORD src1_sel:WORD_1
	v_mul_f16_sdwa v90, v74, v98 dst_sel:DWORD dst_unused:UNUSED_PAD src0_sel:DWORD src1_sel:WORD_1
	s_waitcnt vmcnt(2) lgkmcnt(2)
	v_mul_f16_sdwa v93, v88, v46 dst_sel:DWORD dst_unused:UNUSED_PAD src0_sel:DWORD src1_sel:WORD_1
	v_mul_f16_sdwa v96, v73, v46 dst_sel:DWORD dst_unused:UNUSED_PAD src0_sel:DWORD src1_sel:WORD_1
	v_sub_f16_e32 v11, v68, v11
	v_fma_f16 v74, v74, v98, -v77
	v_fmac_f16_e32 v90, v76, v98
	v_fma_f16 v73, v73, v46, -v93
	v_fmac_f16_e32 v96, v88, v46
	v_sub_f16_e32 v77, v69, v84
	v_fmac_f16_e32 v87, v106, v97
	v_sub_f16_e32 v41, v67, v41
	v_fma_f16 v68, v68, 2.0, -v11
	s_waitcnt vmcnt(1) lgkmcnt(1)
	v_mul_f16_sdwa v46, v95, v47 dst_sel:DWORD dst_unused:UNUSED_PAD src0_sel:DWORD src1_sel:WORD_1
	v_mul_f16_sdwa v88, v71, v47 dst_sel:DWORD dst_unused:UNUSED_PAD src0_sel:DWORD src1_sel:WORD_1
	s_waitcnt vmcnt(0) lgkmcnt(0)
	v_mul_f16_sdwa v76, v107, v10 dst_sel:DWORD dst_unused:UNUSED_PAD src0_sel:DWORD src1_sel:WORD_1
	v_mul_f16_sdwa v93, v70, v10 dst_sel:DWORD dst_unused:UNUSED_PAD src0_sel:DWORD src1_sel:WORD_1
	v_sub_f16_e32 v48, v65, v48
	v_fma_f16 v46, v71, v47, -v46
	v_fmac_f16_e32 v88, v95, v47
	v_fma_f16 v47, v70, v10, -v76
	v_fmac_f16_e32 v93, v107, v10
	v_fma_f16 v10, v69, 2.0, -v77
	ds_read_u16 v84, v52
	ds_read_u16 v95, v12
	;; [unrolled: 1-line block ×14, first 2 shown]
	s_waitcnt lgkmcnt(0)
	s_barrier
	buffer_gl0_inv
	ds_write_b16 v51, v10
	ds_write_b16 v51, v77 offset:1920
	v_sub_f16_e32 v10, v66, v80
	v_fma_f16 v67, v67, 2.0, -v41
	ds_write_b16 v37, v68
	ds_write_b16 v37, v11 offset:1920
	v_fma_f16 v65, v65, 2.0, -v48
	v_sub_f16_e32 v47, v56, v47
	v_fma_f16 v11, v66, 2.0, -v10
	v_sub_f16_e32 v66, v63, v75
	ds_write_b16 v33, v67
	ds_write_b16 v33, v41 offset:1920
	ds_write_b16 v54, v11
	ds_write_b16 v54, v10 offset:1920
	ds_write_b16 v55, v65
	v_sub_f16_e32 v11, v64, v72
	v_fma_f16 v10, v63, 2.0, -v66
	v_cndmask_b32_e64 v41, 0, 0xf00, s0
	ds_write_b16 v55, v48 offset:1920
	ds_write_b16 v52, v66 offset:1920
	v_fma_f16 v48, v64, 2.0, -v11
	ds_write_b16 v52, v10
	v_sub_f16_e32 v10, v62, v82
	v_add3_u32 v2, 0, v41, v2
	v_sub_f16_e32 v41, v61, v79
	ds_write_b16 v12, v48
	ds_write_b16 v12, v11 offset:1920
	v_sub_f16_e32 v11, v59, v78
	v_fma_f16 v62, v62, 2.0, -v10
	ds_write_b16 v2, v10 offset:1920
	v_fma_f16 v48, v61, 2.0, -v41
	v_sub_f16_e32 v61, v60, v81
	v_fma_f16 v10, v59, 2.0, -v11
	ds_write_b16 v2, v62
	ds_write_b16 v1, v48 offset:3968
	ds_write_b16 v1, v41 offset:5888
	v_fma_f16 v41, v60, 2.0, -v61
	v_sub_f16_e32 v48, v58, v74
	ds_write_b16 v1, v10 offset:4224
	ds_write_b16 v1, v11 offset:6144
	v_sub_f16_e32 v10, v57, v73
	ds_write_b16 v1, v61 offset:6400
	ds_write_b16 v1, v41 offset:4480
	v_fma_f16 v11, v58, 2.0, -v48
	v_sub_f16_e32 v41, v39, v46
	v_fma_f16 v46, v57, 2.0, -v10
	ds_write_b16 v1, v11 offset:4736
	ds_write_b16 v1, v48 offset:6656
	v_fma_f16 v11, v39, 2.0, -v41
	v_fma_f16 v39, v56, 2.0, -v47
	v_sub_f16_e32 v81, v101, v103
	ds_write_b16 v1, v46 offset:4992
	ds_write_b16 v1, v10 offset:6912
	;; [unrolled: 1-line block ×6, first 2 shown]
	s_waitcnt lgkmcnt(0)
	s_barrier
	buffer_gl0_inv
	ds_read_u16 v64, v52
	ds_read_u16 v61, v51
	ds_read_u16 v74, v51 offset:3840
	ds_read_u16 v75, v51 offset:4096
	;; [unrolled: 1-line block ×7, first 2 shown]
	ds_read_u16 v69, v12
	ds_read_u16 v10, v13
	;; [unrolled: 1-line block ×13, first 2 shown]
	ds_read_u16 v59, v51 offset:5632
	ds_read_u16 v60, v51 offset:5888
	;; [unrolled: 1-line block ×8, first 2 shown]
	v_fma_f16 v39, v101, 2.0, -v81
	v_sub_f16_e32 v41, v111, v105
	s_waitcnt lgkmcnt(0)
	s_barrier
	buffer_gl0_inv
	v_sub_f16_e32 v82, v110, v83
	v_fma_f16 v83, v111, 2.0, -v41
	ds_write_b16 v51, v39
	ds_write_b16 v51, v81 offset:1920
	v_sub_f16_e32 v39, v102, v91
	ds_write_b16 v37, v83
	ds_write_b16 v37, v41 offset:1920
	v_fma_f16 v81, v110, 2.0, -v82
	v_sub_f16_e32 v37, v100, v85
	v_fma_f16 v41, v102, 2.0, -v39
	ds_write_b16 v33, v81
	ds_write_b16 v33, v82 offset:1920
	v_sub_f16_e32 v33, v84, v92
	v_fma_f16 v81, v100, 2.0, -v37
	ds_write_b16 v54, v41
	v_sub_f16_e32 v41, v95, v86
	ds_write_b16 v54, v39 offset:1920
	v_fma_f16 v39, v84, 2.0, -v33
	ds_write_b16 v55, v81
	ds_write_b16 v55, v37 offset:1920
	v_sub_f16_e32 v81, v97, v109
	v_fma_f16 v37, v95, 2.0, -v41
	ds_write_b16 v52, v39
	ds_write_b16 v52, v33 offset:1920
	v_sub_f16_e32 v33, v98, v89
	v_sub_f16_e32 v39, v99, v94
	ds_write_b16 v12, v37
	v_fma_f16 v37, v97, 2.0, -v81
	v_sub_f16_e32 v82, v104, v87
	ds_write_b16 v12, v41 offset:1920
	v_fma_f16 v41, v98, 2.0, -v33
	ds_write_b16 v2, v37
	ds_write_b16 v2, v81 offset:1920
	v_fma_f16 v2, v99, 2.0, -v39
	v_fma_f16 v37, v104, 2.0, -v82
	ds_write_b16 v1, v33 offset:5888
	v_sub_f16_e32 v33, v106, v90
	ds_write_b16 v1, v41 offset:3968
	ds_write_b16 v1, v2 offset:4224
	;; [unrolled: 1-line block ×4, first 2 shown]
	v_sub_f16_e32 v2, v107, v96
	v_sub_f16_e32 v39, v108, v88
	v_fma_f16 v37, v106, 2.0, -v33
	v_sub_f16_e32 v41, v112, v93
	ds_write_b16 v1, v33 offset:6656
	v_fma_f16 v81, v107, 2.0, -v2
	ds_write_b16 v1, v82 offset:6400
	ds_write_b16 v1, v37 offset:4736
	v_fma_f16 v37, v108, 2.0, -v39
	v_fma_f16 v33, v112, 2.0, -v41
	ds_write_b16 v1, v81 offset:4992
	ds_write_b16 v1, v2 offset:6912
	;; [unrolled: 1-line block ×6, first 2 shown]
	s_waitcnt lgkmcnt(0)
	s_barrier
	buffer_gl0_inv
	s_and_saveexec_b32 s0, vcc_lo
	s_cbranch_execz .LBB0_15
; %bb.14:
	v_mov_b32_e32 v41, v3
	v_mov_b32_e32 v39, v3
	;; [unrolled: 1-line block ×3, first 2 shown]
	v_mul_lo_u32 v25, s2, v25
	v_lshlrev_b64 v[1:2], 2, v[40:41]
	v_lshlrev_b64 v[38:39], 2, v[38:39]
	v_add_co_u32 v1, vcc_lo, s12, v1
	v_add_co_ci_u32_e32 v2, vcc_lo, s13, v2, vcc_lo
	v_add_co_u32 v33, vcc_lo, s12, v38
	v_add_co_ci_u32_e32 v40, vcc_lo, s13, v39, vcc_lo
	v_add_co_u32 v1, vcc_lo, 0x1800, v1
	v_lshlrev_b64 v[37:38], 2, v[36:37]
	v_add_co_ci_u32_e32 v2, vcc_lo, 0, v2, vcc_lo
	v_add_co_u32 v39, vcc_lo, 0x1800, v33
	v_add_co_ci_u32_e32 v40, vcc_lo, 0, v40, vcc_lo
	v_add_co_u32 v33, vcc_lo, s12, v37
	;; [unrolled: 2-line block ×7, first 2 shown]
	v_mov_b32_e32 v36, v3
	v_add_co_ci_u32_e32 v9, vcc_lo, 0, v9, vcc_lo
	v_add_co_u32 v6, vcc_lo, 0x1800, v6
	v_add_co_ci_u32_e32 v7, vcc_lo, 0, v7, vcc_lo
	v_lshlrev_b64 v[35:36], 2, v[35:36]
	v_add_co_u32 v4, vcc_lo, 0x1800, v4
	v_add_co_ci_u32_e32 v5, vcc_lo, 0, v5, vcc_lo
	s_clause 0x5
	global_load_dword v27, v[37:38], off offset:1496
	global_load_dword v29, v[41:42], off offset:1496
	;; [unrolled: 1-line block ×6, first 2 shown]
	v_add_co_u32 v6, vcc_lo, 0x1800, v33
	v_mov_b32_e32 v33, v3
	v_add_co_ci_u32_e32 v7, vcc_lo, 0, v81, vcc_lo
	v_add_co_u32 v8, vcc_lo, s12, v35
	global_load_dword v43, v[4:5], off offset:1496
	v_add_co_ci_u32_e32 v9, vcc_lo, s13, v36, vcc_lo
	v_lshlrev_b64 v[4:5], 2, v[32:33]
	v_add_co_u32 v8, vcc_lo, 0x1800, v8
	v_mov_b32_e32 v35, v3
	v_add_co_ci_u32_e32 v9, vcc_lo, 0, v9, vcc_lo
	v_add_co_u32 v4, vcc_lo, s12, v4
	v_add_co_ci_u32_e32 v5, vcc_lo, s13, v5, vcc_lo
	v_lshlrev_b64 v[20:21], 2, v[34:35]
	v_mov_b32_e32 v32, v3
	v_add_co_u32 v4, vcc_lo, 0x1800, v4
	v_add_co_ci_u32_e32 v5, vcc_lo, 0, v5, vcc_lo
	s_clause 0x4
	global_load_dword v33, v[1:2], off offset:1496
	global_load_dword v34, v[39:40], off offset:1496
	;; [unrolled: 1-line block ×5, first 2 shown]
	v_add_co_u32 v4, vcc_lo, s12, v20
	v_lshlrev_b64 v[1:2], 2, v[31:32]
	v_mov_b32_e32 v31, v3
	v_add_co_ci_u32_e32 v5, vcc_lo, s13, v21, vcc_lo
	v_add_co_u32 v4, vcc_lo, 0x1800, v4
	v_lshlrev_b64 v[6:7], 2, v[30:31]
	v_add_co_ci_u32_e32 v5, vcc_lo, 0, v5, vcc_lo
	v_add_co_u32 v1, vcc_lo, s12, v1
	v_add_co_ci_u32_e32 v2, vcc_lo, s13, v2, vcc_lo
	v_add_co_u32 v6, vcc_lo, s12, v6
	;; [unrolled: 2-line block ×4, first 2 shown]
	v_add_co_ci_u32_e32 v7, vcc_lo, 0, v7, vcc_lo
	s_clause 0x2
	global_load_dword v20, v[4:5], off offset:1496
	global_load_dword v21, v[1:2], off offset:1496
	;; [unrolled: 1-line block ×3, first 2 shown]
	v_mul_i32_i24_e32 v6, 0xffffffee, v26
	v_mul_i32_i24_e32 v7, 0xffffffee, v28
	v_mul_lo_u32 v8, s3, v24
	v_mad_u64_u32 v[1:2], null, s2, v24, 0
	ds_read_u16 v24, v19
	ds_read_u16 v26, v18
	;; [unrolled: 1-line block ×4, first 2 shown]
	ds_read_u16 v32, v51 offset:7424
	ds_read_u16 v39, v51 offset:7168
	ds_read_u16 v40, v51 offset:6912
	ds_read_u16 v44, v51 offset:6656
	ds_read_u16 v45, v51 offset:6400
	ds_read_u16 v81, v51 offset:6144
	ds_read_u16 v82, v51 offset:5888
	ds_read_u16 v83, v51 offset:5632
	ds_read_u16 v84, v15
	ds_read_u16 v85, v14
	;; [unrolled: 1-line block ×8, first 2 shown]
	ds_read_u16 v88, v51 offset:5376
	ds_read_u16 v89, v51 offset:5120
	;; [unrolled: 1-line block ×7, first 2 shown]
	ds_read_u16 v51, v51
	v_add_nc_u32_e32 v13, 0x80, v0
	v_add_nc_u32_e32 v7, v50, v7
	;; [unrolled: 1-line block ×4, first 2 shown]
	v_mul_hi_u32 v12, 0x88888889, v0
	v_mul_hi_u32 v16, 0x88888889, v13
	v_add3_u32 v2, v2, v25, v8
	ds_read_u16 v25, v7
	ds_read_u16 v49, v6
	v_add_nc_u32_e32 v15, 0x180, v0
	v_mul_hi_u32 v17, 0x88888889, v14
	v_lshlrev_b64 v[4:5], 2, v[22:23]
	v_lshlrev_b64 v[1:2], 2, v[1:2]
	v_lshrrev_b32_e32 v12, 10, v12
	v_lshrrev_b32_e32 v7, 10, v16
	v_mul_hi_u32 v18, 0x88888889, v15
	v_add_nc_u32_e32 v22, 0x200, v0
	v_add_co_u32 v1, vcc_lo, s10, v1
	v_mul_u32_u24_e32 v8, 0x780, v7
	v_lshrrev_b32_e32 v16, 10, v17
	v_add_co_ci_u32_e32 v2, vcc_lo, s11, v2, vcc_lo
	v_add_co_u32 v1, vcc_lo, v1, v4
	v_sub_nc_u32_e32 v8, v13, v8
	v_mul_u32_u24_e32 v6, 0x780, v12
	v_lshrrev_b32_e32 v50, 10, v18
	v_mul_u32_u24_e32 v12, 0x780, v16
	v_add_co_ci_u32_e32 v4, vcc_lo, v2, v5, vcc_lo
	v_mad_u32_u24 v2, 0xf00, v7, v8
	v_mul_u32_u24_e32 v17, 0x780, v50
	v_sub_nc_u32_e32 v18, v14, v12
	v_sub_nc_u32_e32 v6, v0, v6
	v_mul_hi_u32 v23, 0x88888889, v22
	v_lshlrev_b64 v[7:8], 2, v[2:3]
	v_add_nc_u32_e32 v2, 0x780, v2
	v_sub_nc_u32_e32 v95, v15, v17
	v_lshlrev_b32_e32 v6, 2, v6
	v_lshlrev_b64 v[14:15], 2, v[2:3]
	v_mad_u32_u24 v2, 0xf00, v16, v18
	v_add_co_u32 v5, vcc_lo, v1, v6
	v_add_co_ci_u32_e32 v6, vcc_lo, 0, v4, vcc_lo
	v_lshlrev_b64 v[16:17], 2, v[2:3]
	v_add_nc_u32_e32 v2, 0x780, v2
	v_add_co_u32 v12, vcc_lo, 0x1800, v5
	v_add_co_ci_u32_e32 v13, vcc_lo, 0, v6, vcc_lo
	v_lshlrev_b64 v[18:19], 2, v[2:3]
	v_add_co_u32 v7, vcc_lo, v1, v7
	v_add_co_ci_u32_e32 v8, vcc_lo, v4, v8, vcc_lo
	v_add_co_u32 v14, vcc_lo, v1, v14
	v_add_co_ci_u32_e32 v15, vcc_lo, v4, v15, vcc_lo
	s_waitcnt vmcnt(14)
	v_lshrrev_b32_e32 v2, 16, v27
	s_waitcnt lgkmcnt(9)
	v_mul_f16_e32 v96, v27, v88
	s_waitcnt vmcnt(13)
	v_lshrrev_b32_e32 v97, 16, v29
	s_waitcnt vmcnt(12)
	v_lshrrev_b32_e32 v99, 16, v37
	;; [unrolled: 2-line block ×5, first 2 shown]
	s_waitcnt lgkmcnt(5)
	v_mul_f16_e32 v104, v41, v92
	s_waitcnt lgkmcnt(4)
	v_mul_f16_e32 v106, v42, v93
	v_mul_f16_e32 v98, v29, v89
	;; [unrolled: 1-line block ×5, first 2 shown]
	s_waitcnt vmcnt(8)
	v_lshrrev_b32_e32 v107, 16, v43
	s_waitcnt lgkmcnt(3)
	v_mul_f16_e32 v108, v43, v94
	v_fmac_f16_e32 v96, v80, v2
	v_mul_f16_e32 v2, v97, v89
	v_mul_f16_e32 v89, v99, v90
	;; [unrolled: 1-line block ×6, first 2 shown]
	v_fmac_f16_e32 v104, v76, v103
	v_fmac_f16_e32 v106, v75, v105
	;; [unrolled: 1-line block ×3, first 2 shown]
	v_fma_f16 v27, v80, v27, -v88
	v_fma_f16 v43, v74, v43, -v93
	v_sub_f16_e32 v80, v87, v96
	v_fma_f16 v2, v79, v29, -v2
	v_fma_f16 v41, v76, v41, -v91
	s_waitcnt lgkmcnt(1)
	v_sub_f16_e32 v76, v25, v104
	v_fma_f16 v42, v75, v42, -v92
	v_fmac_f16_e32 v100, v78, v99
	v_fmac_f16_e32 v102, v77, v101
	s_waitcnt lgkmcnt(0)
	v_sub_f16_e32 v75, v49, v106
	v_sub_f16_e32 v74, v51, v108
	;; [unrolled: 1-line block ×3, first 2 shown]
	v_fmac_f16_e32 v98, v79, v97
	v_fma_f16 v79, v87, 2.0, -v80
	v_sub_f16_e32 v87, v64, v2
	v_fma_f16 v2, v25, 2.0, -v76
	v_sub_f16_e32 v25, v72, v42
	v_fma_f16 v37, v78, v37, -v89
	v_sub_f16_e32 v78, v55, v100
	v_fma_f16 v38, v77, v38, -v90
	v_sub_f16_e32 v77, v54, v102
	v_fma_f16 v42, v49, 2.0, -v75
	v_fma_f16 v49, v51, 2.0, -v74
	s_waitcnt vmcnt(7)
	v_lshrrev_b32_e32 v51, 16, v33
	s_waitcnt vmcnt(6)
	v_lshrrev_b32_e32 v89, 16, v34
	v_fma_f16 v61, v61, 2.0, -v43
	v_fma_f16 v72, v72, 2.0, -v25
	v_pack_b32_f16 v43, v43, v74
	v_sub_f16_e32 v41, v73, v41
	v_mul_f16_e32 v88, v33, v32
	v_mul_f16_e32 v90, v34, v39
	s_waitcnt vmcnt(5)
	v_lshrrev_b32_e32 v91, 16, v35
	v_mul_f16_e32 v92, v35, v40
	s_waitcnt vmcnt(4)
	v_lshrrev_b32_e32 v93, 16, v9
	s_waitcnt vmcnt(3)
	v_lshrrev_b32_e32 v96, 16, v36
	;; [unrolled: 2-line block ×4, first 2 shown]
	v_mul_f16_e32 v97, v36, v45
	v_pack_b32_f16 v25, v25, v75
	v_mul_f16_e32 v32, v51, v32
	v_mul_f16_e32 v39, v89, v39
	;; [unrolled: 1-line block ×4, first 2 shown]
	v_pack_b32_f16 v49, v61, v49
	global_store_dword v[12:13], v43, off offset:1536
	v_pack_b32_f16 v12, v72, v42
	v_mul_f16_e32 v94, v9, v44
	v_mul_f16_e32 v101, v21, v82
	;; [unrolled: 1-line block ×3, first 2 shown]
	v_fma_f16 v73, v73, 2.0, -v41
	v_fmac_f16_e32 v88, v68, v51
	v_fmac_f16_e32 v90, v67, v89
	v_mul_f16_e32 v40, v91, v40
	v_fmac_f16_e32 v92, v66, v91
	v_mul_f16_e32 v44, v93, v44
	v_fmac_f16_e32 v97, v63, v96
	v_fma_f16 v13, v68, v33, -v32
	v_fma_f16 v33, v67, v34, -v39
	;; [unrolled: 1-line block ×4, first 2 shown]
	global_store_dword v[5:6], v49, off
	global_store_dword v[7:8], v12, off
	;; [unrolled: 1-line block ×3, first 2 shown]
	v_add_co_u32 v5, vcc_lo, v1, v16
	v_sub_f16_e32 v32, v24, v88
	v_sub_f16_e32 v34, v26, v90
	v_fma_f16 v35, v66, v35, -v40
	v_sub_f16_e32 v39, v28, v92
	v_fma_f16 v9, v65, v9, -v44
	v_sub_f16_e32 v42, v53, v97
	v_sub_f16_e32 v15, v57, v33
	;; [unrolled: 1-line block ×4, first 2 shown]
	v_add_co_ci_u32_e32 v6, vcc_lo, v4, v17, vcc_lo
	v_pack_b32_f16 v16, v73, v2
	v_mad_u32_u24 v2, 0xf00, v50, v95
	v_lshrrev_b32_e32 v17, 10, v23
	v_add_co_u32 v7, vcc_lo, v1, v18
	v_add_nc_u32_e32 v23, 0x280, v0
	v_add_co_ci_u32_e32 v8, vcc_lo, v4, v19, vcc_lo
	v_pack_b32_f16 v18, v41, v76
	v_fma_f16 v14, v24, 2.0, -v32
	v_fma_f16 v24, v26, 2.0, -v34
	v_sub_f16_e32 v25, v56, v35
	v_fma_f16 v26, v28, 2.0, -v39
	v_sub_f16_e32 v28, v48, v9
	v_fma_f16 v35, v53, 2.0, -v42
	v_fma_f16 v53, v57, 2.0, -v15
	;; [unrolled: 1-line block ×4, first 2 shown]
	v_lshlrev_b64 v[9:10], 2, v[2:3]
	v_add_nc_u32_e32 v2, 0x780, v2
	v_mul_u32_u24_e32 v19, 0x780, v17
	v_sub_f16_e32 v38, v70, v38
	global_store_dword v[5:6], v16, off
	global_store_dword v[7:8], v18, off
	v_mul_hi_u32 v16, 0x88888889, v23
	v_lshlrev_b64 v[5:6], 2, v[2:3]
	v_sub_nc_u32_e32 v2, v22, v19
	v_fma_f16 v54, v54, 2.0, -v77
	v_fma_f16 v70, v70, 2.0, -v38
	v_add_co_u32 v7, vcc_lo, v1, v9
	v_add_co_ci_u32_e32 v8, vcc_lo, v4, v10, vcc_lo
	v_mad_u32_u24 v2, 0xf00, v17, v2
	v_lshrrev_b32_e32 v16, 10, v16
	v_add_co_u32 v5, vcc_lo, v1, v5
	v_pack_b32_f16 v18, v70, v54
	v_add_nc_u32_e32 v19, 0x300, v0
	v_add_co_ci_u32_e32 v6, vcc_lo, v4, v6, vcc_lo
	v_pack_b32_f16 v17, v38, v77
	v_lshlrev_b64 v[9:10], 2, v[2:3]
	v_add_nc_u32_e32 v2, 0x780, v2
	v_mul_u32_u24_e32 v22, 0x780, v16
	v_sub_f16_e32 v37, v71, v37
	global_store_dword v[7:8], v18, off
	global_store_dword v[5:6], v17, off
	v_mul_hi_u32 v17, 0x88888889, v19
	v_lshlrev_b64 v[5:6], 2, v[2:3]
	v_sub_nc_u32_e32 v2, v23, v22
	v_fma_f16 v55, v55, 2.0, -v78
	v_fma_f16 v71, v71, 2.0, -v37
	v_add_co_u32 v7, vcc_lo, v1, v9
	v_add_co_ci_u32_e32 v8, vcc_lo, v4, v10, vcc_lo
	v_mad_u32_u24 v2, 0xf00, v16, v2
	v_lshrrev_b32_e32 v16, 10, v17
	v_add_co_u32 v5, vcc_lo, v1, v5
	v_pack_b32_f16 v18, v71, v55
	v_add_nc_u32_e32 v23, 0x380, v0
	v_add_co_ci_u32_e32 v6, vcc_lo, v4, v6, vcc_lo
	v_pack_b32_f16 v17, v37, v78
	;; [unrolled: 20-line block ×3, first 2 shown]
	v_lshlrev_b64 v[9:10], 2, v[2:3]
	v_add_nc_u32_e32 v2, 0x780, v2
	v_mul_u32_u24_e32 v22, 0x780, v16
	global_store_dword v[7:8], v18, off
	global_store_dword v[5:6], v17, off
	v_mul_hi_u32 v17, 0x88888889, v19
	v_mul_f16_e32 v45, v96, v45
	v_lshlrev_b64 v[5:6], 2, v[2:3]
	v_sub_nc_u32_e32 v2, v23, v22
	v_fmac_f16_e32 v103, v59, v102
	v_add_nc_u32_e32 v22, 0x480, v0
	v_sub_f16_e32 v27, v69, v27
	v_fma_f16 v36, v63, v36, -v45
	v_mad_u32_u24 v2, 0xf00, v16, v2
	v_lshrrev_b32_e32 v16, 10, v17
	v_sub_f16_e32 v45, v86, v103
	v_add_co_u32 v7, vcc_lo, v1, v9
	v_add_co_ci_u32_e32 v8, vcc_lo, v4, v10, vcc_lo
	v_mul_u32_u24_e32 v17, 0x780, v16
	v_lshlrev_b64 v[9:10], 2, v[2:3]
	v_fma_f16 v69, v69, 2.0, -v27
	v_fma_f16 v12, v86, 2.0, -v45
	v_add_nc_u32_e32 v2, 0x780, v2
	v_sub_nc_u32_e32 v17, v19, v17
	v_mul_hi_u32 v19, 0x88888889, v22
	v_add_co_u32 v5, vcc_lo, v1, v5
	v_add_co_ci_u32_e32 v6, vcc_lo, v4, v6, vcc_lo
	v_add_co_u32 v9, vcc_lo, v1, v9
	v_pack_b32_f16 v18, v69, v79
	v_pack_b32_f16 v23, v27, v80
	;; [unrolled: 1-line block ×3, first 2 shown]
	v_lshlrev_b64 v[11:12], 2, v[2:3]
	v_mad_u32_u24 v2, 0xf00, v16, v17
	v_lshrrev_b32_e32 v16, 10, v19
	v_add_co_ci_u32_e32 v10, vcc_lo, v4, v10, vcc_lo
	v_fmac_f16_e32 v101, v60, v100
	global_store_dword v[7:8], v18, off
	global_store_dword v[5:6], v23, off
	;; [unrolled: 1-line block ×3, first 2 shown]
	v_lshlrev_b64 v[5:6], 2, v[2:3]
	v_add_nc_u32_e32 v2, 0x780, v2
	v_mul_u32_u24_e32 v17, 0x780, v16
	v_add_nc_u32_e32 v18, 0x500, v0
	v_sub_f16_e32 v44, v85, v101
	v_add_co_u32 v7, vcc_lo, v1, v11
	v_lshlrev_b64 v[9:10], 2, v[2:3]
	v_mul_hi_u32 v11, 0x88888889, v18
	v_sub_nc_u32_e32 v2, v22, v17
	v_lshrrev_b32_e32 v98, 16, v20
	v_fma_f16 v49, v85, 2.0, -v44
	v_add_co_ci_u32_e32 v8, vcc_lo, v4, v12, vcc_lo
	v_add_co_u32 v5, vcc_lo, v1, v5
	v_mad_u32_u24 v2, 0xf00, v16, v2
	v_mul_f16_e32 v99, v20, v81
	v_mul_f16_e32 v51, v98, v81
	v_add_co_ci_u32_e32 v6, vcc_lo, v4, v6, vcc_lo
	v_pack_b32_f16 v19, v30, v45
	v_lshrrev_b32_e32 v16, 10, v11
	v_add_co_u32 v9, vcc_lo, v1, v9
	v_pack_b32_f16 v17, v57, v49
	v_add_co_ci_u32_e32 v10, vcc_lo, v4, v10, vcc_lo
	v_pack_b32_f16 v21, v21, v44
	v_lshlrev_b64 v[11:12], 2, v[2:3]
	v_fmac_f16_e32 v99, v62, v98
	v_fma_f16 v20, v62, v20, -v51
	v_add_nc_u32_e32 v2, 0x780, v2
	v_mul_u32_u24_e32 v22, 0x780, v16
	global_store_dword v[7:8], v19, off
	global_store_dword v[5:6], v17, off
	;; [unrolled: 1-line block ×3, first 2 shown]
	v_add_nc_u32_e32 v17, 0x580, v0
	v_sub_f16_e32 v43, v84, v99
	v_sub_f16_e32 v20, v46, v20
	v_add_co_u32 v7, vcc_lo, v1, v11
	v_lshlrev_b64 v[5:6], 2, v[2:3]
	v_sub_nc_u32_e32 v2, v18, v22
	v_add_co_ci_u32_e32 v8, vcc_lo, v4, v12, vcc_lo
	v_mul_hi_u32 v12, 0x88888889, v17
	v_sub_f16_e32 v33, v47, v36
	v_fma_f16 v36, v84, 2.0, -v43
	v_fma_f16 v46, v46, 2.0, -v20
	v_mad_u32_u24 v2, 0xf00, v16, v2
	v_add_co_u32 v5, vcc_lo, v1, v5
	v_add_co_ci_u32_e32 v6, vcc_lo, v4, v6, vcc_lo
	v_pack_b32_f16 v11, v46, v36
	v_lshrrev_b32_e32 v12, 10, v12
	v_pack_b32_f16 v16, v20, v43
	v_lshlrev_b64 v[9:10], 2, v[2:3]
	v_add_nc_u32_e32 v2, 0x780, v2
	v_add_nc_u32_e32 v18, 0x600, v0
	global_store_dword v[7:8], v11, off
	global_store_dword v[5:6], v16, off
	v_mul_u32_u24_e32 v11, 0x780, v12
	v_fma_f16 v47, v47, 2.0, -v33
	v_lshlrev_b64 v[5:6], 2, v[2:3]
	v_mul_hi_u32 v2, 0x88888889, v18
	v_add_co_u32 v7, vcc_lo, v1, v9
	v_add_co_ci_u32_e32 v8, vcc_lo, v4, v10, vcc_lo
	v_sub_nc_u32_e32 v10, v17, v11
	v_add_co_u32 v5, vcc_lo, v1, v5
	v_lshrrev_b32_e32 v11, 10, v2
	v_add_co_ci_u32_e32 v6, vcc_lo, v4, v6, vcc_lo
	v_mad_u32_u24 v2, 0xf00, v12, v10
	v_pack_b32_f16 v10, v33, v42
	v_add_nc_u32_e32 v12, 0x680, v0
	v_pack_b32_f16 v9, v47, v35
	v_fmac_f16_e32 v94, v65, v93
	v_add_nc_u32_e32 v0, 0x700, v0
	global_store_dword v[5:6], v10, off
	v_mul_hi_u32 v10, 0x88888889, v12
	global_store_dword v[7:8], v9, off
	v_mul_u32_u24_e32 v9, 0x780, v11
	v_lshlrev_b64 v[7:8], 2, v[2:3]
	v_sub_f16_e32 v40, v31, v94
	v_add_nc_u32_e32 v2, 0x780, v2
	v_fma_f16 v48, v48, 2.0, -v28
	v_sub_nc_u32_e32 v9, v18, v9
	v_lshrrev_b32_e32 v17, 10, v10
	v_mul_hi_u32 v18, 0x88888889, v0
	v_add_co_u32 v5, vcc_lo, v1, v7
	v_fma_f16 v31, v31, 2.0, -v40
	v_add_co_ci_u32_e32 v6, vcc_lo, v4, v8, vcc_lo
	v_lshlrev_b64 v[7:8], 2, v[2:3]
	v_mad_u32_u24 v2, 0xf00, v11, v9
	v_mul_u32_u24_e32 v11, 0x780, v17
	v_pack_b32_f16 v16, v48, v31
	v_lshrrev_b32_e32 v18, 10, v18
	v_fma_f16 v56, v56, 2.0, -v25
	v_lshlrev_b64 v[9:10], 2, v[2:3]
	v_add_nc_u32_e32 v2, 0x780, v2
	v_sub_nc_u32_e32 v20, v12, v11
	global_store_dword v[5:6], v16, off
	v_mul_u32_u24_e32 v16, 0x780, v18
	v_add_co_u32 v7, vcc_lo, v1, v7
	v_lshlrev_b64 v[11:12], 2, v[2:3]
	v_mad_u32_u24 v2, 0xf00, v17, v20
	v_add_co_ci_u32_e32 v8, vcc_lo, v4, v8, vcc_lo
	v_add_co_u32 v9, vcc_lo, v1, v9
	v_pack_b32_f16 v19, v28, v40
	v_lshlrev_b64 v[5:6], 2, v[2:3]
	v_add_nc_u32_e32 v2, 0x780, v2
	v_sub_nc_u32_e32 v0, v0, v16
	v_add_co_ci_u32_e32 v10, vcc_lo, v4, v10, vcc_lo
	v_pack_b32_f16 v21, v56, v26
	global_store_dword v[7:8], v19, off
	global_store_dword v[9:10], v21, off
	v_lshlrev_b64 v[9:10], 2, v[2:3]
	v_mad_u32_u24 v2, 0xf00, v18, v0
	v_add_co_u32 v7, vcc_lo, v1, v11
	v_add_co_ci_u32_e32 v8, vcc_lo, v4, v12, vcc_lo
	v_lshlrev_b64 v[11:12], 2, v[2:3]
	v_add_nc_u32_e32 v2, 0x780, v2
	v_sub_f16_e32 v13, v58, v13
	v_add_co_u32 v5, vcc_lo, v1, v5
	v_add_co_ci_u32_e32 v6, vcc_lo, v4, v6, vcc_lo
	v_add_co_u32 v9, vcc_lo, v1, v9
	v_lshlrev_b64 v[2:3], 2, v[2:3]
	v_fma_f16 v51, v58, 2.0, -v13
	v_add_co_ci_u32_e32 v10, vcc_lo, v4, v10, vcc_lo
	v_add_co_u32 v11, vcc_lo, v1, v11
	v_pack_b32_f16 v16, v25, v39
	v_pack_b32_f16 v17, v53, v24
	v_add_co_ci_u32_e32 v12, vcc_lo, v4, v12, vcc_lo
	v_pack_b32_f16 v15, v15, v34
	v_add_co_u32 v0, vcc_lo, v1, v2
	v_pack_b32_f16 v14, v51, v14
	v_add_co_ci_u32_e32 v1, vcc_lo, v4, v3, vcc_lo
	v_pack_b32_f16 v2, v13, v32
	global_store_dword v[7:8], v16, off
	global_store_dword v[5:6], v17, off
	;; [unrolled: 1-line block ×5, first 2 shown]
.LBB0_15:
	s_endpgm
	.section	.rodata,"a",@progbits
	.p2align	6, 0x0
	.amdhsa_kernel fft_rtc_fwd_len3840_factors_10_6_2_2_2_2_2_2_wgs_128_tpt_128_halfLds_half_op_CI_CI_unitstride_sbrr_dirReg
		.amdhsa_group_segment_fixed_size 0
		.amdhsa_private_segment_fixed_size 0
		.amdhsa_kernarg_size 104
		.amdhsa_user_sgpr_count 6
		.amdhsa_user_sgpr_private_segment_buffer 1
		.amdhsa_user_sgpr_dispatch_ptr 0
		.amdhsa_user_sgpr_queue_ptr 0
		.amdhsa_user_sgpr_kernarg_segment_ptr 1
		.amdhsa_user_sgpr_dispatch_id 0
		.amdhsa_user_sgpr_flat_scratch_init 0
		.amdhsa_user_sgpr_private_segment_size 0
		.amdhsa_wavefront_size32 1
		.amdhsa_uses_dynamic_stack 0
		.amdhsa_system_sgpr_private_segment_wavefront_offset 0
		.amdhsa_system_sgpr_workgroup_id_x 1
		.amdhsa_system_sgpr_workgroup_id_y 0
		.amdhsa_system_sgpr_workgroup_id_z 0
		.amdhsa_system_sgpr_workgroup_info 0
		.amdhsa_system_vgpr_workitem_id 0
		.amdhsa_next_free_vgpr 151
		.amdhsa_next_free_sgpr 27
		.amdhsa_reserve_vcc 1
		.amdhsa_reserve_flat_scratch 0
		.amdhsa_float_round_mode_32 0
		.amdhsa_float_round_mode_16_64 0
		.amdhsa_float_denorm_mode_32 3
		.amdhsa_float_denorm_mode_16_64 3
		.amdhsa_dx10_clamp 1
		.amdhsa_ieee_mode 1
		.amdhsa_fp16_overflow 0
		.amdhsa_workgroup_processor_mode 1
		.amdhsa_memory_ordered 1
		.amdhsa_forward_progress 0
		.amdhsa_shared_vgpr_count 0
		.amdhsa_exception_fp_ieee_invalid_op 0
		.amdhsa_exception_fp_denorm_src 0
		.amdhsa_exception_fp_ieee_div_zero 0
		.amdhsa_exception_fp_ieee_overflow 0
		.amdhsa_exception_fp_ieee_underflow 0
		.amdhsa_exception_fp_ieee_inexact 0
		.amdhsa_exception_int_div_zero 0
	.end_amdhsa_kernel
	.text
.Lfunc_end0:
	.size	fft_rtc_fwd_len3840_factors_10_6_2_2_2_2_2_2_wgs_128_tpt_128_halfLds_half_op_CI_CI_unitstride_sbrr_dirReg, .Lfunc_end0-fft_rtc_fwd_len3840_factors_10_6_2_2_2_2_2_2_wgs_128_tpt_128_halfLds_half_op_CI_CI_unitstride_sbrr_dirReg
                                        ; -- End function
	.section	.AMDGPU.csdata,"",@progbits
; Kernel info:
; codeLenInByte = 26896
; NumSgprs: 29
; NumVgprs: 151
; ScratchSize: 0
; MemoryBound: 0
; FloatMode: 240
; IeeeMode: 1
; LDSByteSize: 0 bytes/workgroup (compile time only)
; SGPRBlocks: 3
; VGPRBlocks: 18
; NumSGPRsForWavesPerEU: 29
; NumVGPRsForWavesPerEU: 151
; Occupancy: 6
; WaveLimiterHint : 1
; COMPUTE_PGM_RSRC2:SCRATCH_EN: 0
; COMPUTE_PGM_RSRC2:USER_SGPR: 6
; COMPUTE_PGM_RSRC2:TRAP_HANDLER: 0
; COMPUTE_PGM_RSRC2:TGID_X_EN: 1
; COMPUTE_PGM_RSRC2:TGID_Y_EN: 0
; COMPUTE_PGM_RSRC2:TGID_Z_EN: 0
; COMPUTE_PGM_RSRC2:TIDIG_COMP_CNT: 0
	.text
	.p2alignl 6, 3214868480
	.fill 48, 4, 3214868480
	.type	__hip_cuid_3524e39894315cb8,@object ; @__hip_cuid_3524e39894315cb8
	.section	.bss,"aw",@nobits
	.globl	__hip_cuid_3524e39894315cb8
__hip_cuid_3524e39894315cb8:
	.byte	0                               ; 0x0
	.size	__hip_cuid_3524e39894315cb8, 1

	.ident	"AMD clang version 19.0.0git (https://github.com/RadeonOpenCompute/llvm-project roc-6.4.0 25133 c7fe45cf4b819c5991fe208aaa96edf142730f1d)"
	.section	".note.GNU-stack","",@progbits
	.addrsig
	.addrsig_sym __hip_cuid_3524e39894315cb8
	.amdgpu_metadata
---
amdhsa.kernels:
  - .args:
      - .actual_access:  read_only
        .address_space:  global
        .offset:         0
        .size:           8
        .value_kind:     global_buffer
      - .offset:         8
        .size:           8
        .value_kind:     by_value
      - .actual_access:  read_only
        .address_space:  global
        .offset:         16
        .size:           8
        .value_kind:     global_buffer
      - .actual_access:  read_only
        .address_space:  global
        .offset:         24
        .size:           8
        .value_kind:     global_buffer
      - .actual_access:  read_only
        .address_space:  global
        .offset:         32
        .size:           8
        .value_kind:     global_buffer
      - .offset:         40
        .size:           8
        .value_kind:     by_value
      - .actual_access:  read_only
        .address_space:  global
        .offset:         48
        .size:           8
        .value_kind:     global_buffer
      - .actual_access:  read_only
        .address_space:  global
        .offset:         56
        .size:           8
        .value_kind:     global_buffer
      - .offset:         64
        .size:           4
        .value_kind:     by_value
      - .actual_access:  read_only
        .address_space:  global
        .offset:         72
        .size:           8
        .value_kind:     global_buffer
      - .actual_access:  read_only
        .address_space:  global
        .offset:         80
        .size:           8
        .value_kind:     global_buffer
      - .actual_access:  read_only
        .address_space:  global
        .offset:         88
        .size:           8
        .value_kind:     global_buffer
      - .actual_access:  write_only
        .address_space:  global
        .offset:         96
        .size:           8
        .value_kind:     global_buffer
    .group_segment_fixed_size: 0
    .kernarg_segment_align: 8
    .kernarg_segment_size: 104
    .language:       OpenCL C
    .language_version:
      - 2
      - 0
    .max_flat_workgroup_size: 128
    .name:           fft_rtc_fwd_len3840_factors_10_6_2_2_2_2_2_2_wgs_128_tpt_128_halfLds_half_op_CI_CI_unitstride_sbrr_dirReg
    .private_segment_fixed_size: 0
    .sgpr_count:     29
    .sgpr_spill_count: 0
    .symbol:         fft_rtc_fwd_len3840_factors_10_6_2_2_2_2_2_2_wgs_128_tpt_128_halfLds_half_op_CI_CI_unitstride_sbrr_dirReg.kd
    .uniform_work_group_size: 1
    .uses_dynamic_stack: false
    .vgpr_count:     151
    .vgpr_spill_count: 0
    .wavefront_size: 32
    .workgroup_processor_mode: 1
amdhsa.target:   amdgcn-amd-amdhsa--gfx1030
amdhsa.version:
  - 1
  - 2
...

	.end_amdgpu_metadata
